;; amdgpu-corpus repo=zjin-lcf/HeCBench kind=compiled arch=gfx90a opt=O3
	.text
	.amdgcn_target "amdgcn-amd-amdhsa--gfx90a"
	.amdhsa_code_object_version 6
	.section	.text._Z30fast_hadamard_transform_kernelI37fast_hadamard_transform_kernel_traitsILi1ELi3EfEEv18HadamardParamsBase,"axG",@progbits,_Z30fast_hadamard_transform_kernelI37fast_hadamard_transform_kernel_traitsILi1ELi3EfEEv18HadamardParamsBase,comdat
	.protected	_Z30fast_hadamard_transform_kernelI37fast_hadamard_transform_kernel_traitsILi1ELi3EfEEv18HadamardParamsBase ; -- Begin function _Z30fast_hadamard_transform_kernelI37fast_hadamard_transform_kernel_traitsILi1ELi3EfEEv18HadamardParamsBase
	.globl	_Z30fast_hadamard_transform_kernelI37fast_hadamard_transform_kernel_traitsILi1ELi3EfEEv18HadamardParamsBase
	.p2align	8
	.type	_Z30fast_hadamard_transform_kernelI37fast_hadamard_transform_kernel_traitsILi1ELi3EfEEv18HadamardParamsBase,@function
_Z30fast_hadamard_transform_kernelI37fast_hadamard_transform_kernel_traitsILi1ELi3EfEEv18HadamardParamsBase: ; @_Z30fast_hadamard_transform_kernelI37fast_hadamard_transform_kernel_traitsILi1ELi3EfEEv18HadamardParamsBase
; %bb.0:
	s_load_dwordx4 s[8:11], s[4:5], 0x10
	s_load_dword s16, s[4:5], 0x4
	s_load_dwordx2 s[20:21], s[4:5], 0x20
	s_load_dwordx4 s[0:3], s[4:5], 0x28
	s_waitcnt lgkmcnt(0)
	s_ashr_i32 s21, s6, 31
	s_mul_hi_u32 s7, s8, s6
	s_mul_i32 s12, s8, s21
	s_add_i32 s7, s7, s12
	s_mul_i32 s9, s9, s6
	s_add_i32 s9, s7, s9
	s_mul_i32 s8, s8, s6
	s_lshl_b64 s[8:9], s[8:9], 2
	s_load_dword s4, s[4:5], 0x44
	s_add_u32 s24, s0, s8
	s_addc_u32 s25, s1, s9
	s_cmp_lg_u32 s16, 0
	s_mov_b32 s8, 0
	s_cselect_b64 s[0:1], -1, 0
	s_cmp_eq_u32 s16, 0
	s_mov_b32 s22, 0
	s_mov_b32 s23, 0
	;; [unrolled: 1-line block ×4, first 2 shown]
	s_cbranch_scc1 .LBB0_2
; %bb.1:
	s_load_dwordx4 s[12:15], s[24:25], 0x0
	s_waitcnt lgkmcnt(0)
	s_mov_b32 s22, s13
	s_mov_b32 s23, s14
	;; [unrolled: 1-line block ×3, first 2 shown]
.LBB0_2:
	s_waitcnt lgkmcnt(0)
	s_and_b32 s7, 0xffff, s4
	s_lshl_b32 s9, s7, 2
	s_cmp_lt_u32 s9, s16
	s_cselect_b64 s[4:5], -1, 0
	s_cmp_ge_u32 s9, s16
	s_mov_b32 s9, 0
	s_mov_b32 s16, 0
	;; [unrolled: 1-line block ×3, first 2 shown]
	s_cbranch_scc1 .LBB0_4
; %bb.3:
	s_lshl_b32 s8, s7, 4
	s_load_dwordx4 s[16:19], s[24:25], s8 offset:0x0
	s_waitcnt lgkmcnt(0)
	s_mov_b32 s8, s17
	s_mov_b32 s9, s18
	;; [unrolled: 1-line block ×3, first 2 shown]
.LBB0_4:
	v_mov_b32_e32 v0, s12
	v_mov_b32_e32 v1, s14
	s_mov_b32 s15, s22
	v_pk_add_f32 v[6:7], s[22:23], v[0:1] neg_lo:[0,1] neg_hi:[0,1]
	s_mov_b32 s24, s23
	s_mov_b32 s25, s12
	v_pk_mov_b32 v[0:1], s[14:15], s[14:15] op_sel:[0,1]
	v_mov_b32_e32 v2, s16
	v_mov_b32_e32 v3, s18
	v_pk_add_f32 v[8:9], s[24:25], v[0:1]
	v_pk_add_f32 v[10:11], s[24:25], v[0:1] neg_lo:[0,1] neg_hi:[0,1]
	v_pk_mov_b32 v[0:1], s[16:17], s[16:17] op_sel:[0,1]
	v_pk_mov_b32 v[4:5], s[12:13], s[12:13] op_sel:[0,1]
	v_pk_add_f32 v[12:13], s[8:9], v[0:1]
	v_pk_add_f32 v[14:15], s[8:9], v[2:3] neg_lo:[0,1] neg_hi:[0,1]
	s_mov_b32 s12, s9
	s_mov_b32 s19, s8
	s_mul_i32 s8, s10, s21
	s_mul_hi_u32 s9, s10, s6
	s_mov_b32 s13, s16
	v_pk_mov_b32 v[0:1], s[18:19], s[18:19] op_sel:[0,1]
	s_add_i32 s8, s9, s8
	s_mul_i32 s9, s11, s6
	v_pk_add_f32 v[4:5], s[22:23], v[4:5]
	v_pk_add_f32 v[16:17], s[12:13], v[0:1]
	v_pk_add_f32 v[18:19], s[12:13], v[0:1] neg_lo:[0,1] neg_hi:[0,1]
	s_add_i32 s9, s8, s9
	s_mul_i32 s8, s10, s6
	v_mov_b32_e32 v5, v7
	v_mov_b32_e32 v9, v11
	;; [unrolled: 1-line block ×4, first 2 shown]
	s_lshl_b64 s[8:9], s[8:9], 2
	v_pk_add_f32 v[0:1], v[4:5], v[8:9]
	v_pk_add_f32 v[2:3], v[12:13], v[16:17]
	v_mov_b32_e32 v5, v11
	v_mov_b32_e32 v9, v7
	;; [unrolled: 1-line block ×4, first 2 shown]
	s_add_u32 s2, s2, s8
	v_pk_add_f32 v[4:5], v[4:5], v[8:9] neg_lo:[0,1] neg_hi:[0,1]
	v_pk_add_f32 v[6:7], v[12:13], v[16:17] neg_lo:[0,1] neg_hi:[0,1]
	s_addc_u32 s3, s3, s9
	s_andn2_b64 vcc, exec, s[0:1]
	s_mov_b32 s21, s20
	s_cbranch_vccz .LBB0_7
; %bb.5:
	s_andn2_b64 vcc, exec, s[4:5]
	s_cbranch_vccz .LBB0_8
.LBB0_6:
	s_endpgm
.LBB0_7:
	v_pk_add_f32 v[8:9], v[0:1], v[2:3]
	v_pk_add_f32 v[10:11], v[4:5], v[6:7]
	v_mov_b32_e32 v12, 0
	v_pk_mul_f32 v[8:9], s[20:21], v[8:9]
	v_pk_mul_f32 v[10:11], s[20:21], v[10:11]
	global_store_dwordx4 v12, v[8:11], s[2:3]
	s_andn2_b64 vcc, exec, s[4:5]
	s_cbranch_vccnz .LBB0_6
.LBB0_8:
	v_pk_add_f32 v[0:1], v[0:1], v[2:3] neg_lo:[0,1] neg_hi:[0,1]
	v_pk_add_f32 v[2:3], v[4:5], v[6:7] neg_lo:[0,1] neg_hi:[0,1]
	s_lshl_b32 s0, s7, 4
	v_pk_mul_f32 v[0:1], s[20:21], v[0:1]
	v_pk_mul_f32 v[2:3], s[20:21], v[2:3]
	v_mov_b32_e32 v4, s0
	global_store_dwordx4 v4, v[0:3], s[2:3]
	s_endpgm
	.section	.rodata,"a",@progbits
	.p2align	6, 0x0
	.amdhsa_kernel _Z30fast_hadamard_transform_kernelI37fast_hadamard_transform_kernel_traitsILi1ELi3EfEEv18HadamardParamsBase
		.amdhsa_group_segment_fixed_size 0
		.amdhsa_private_segment_fixed_size 0
		.amdhsa_kernarg_size 312
		.amdhsa_user_sgpr_count 6
		.amdhsa_user_sgpr_private_segment_buffer 1
		.amdhsa_user_sgpr_dispatch_ptr 0
		.amdhsa_user_sgpr_queue_ptr 0
		.amdhsa_user_sgpr_kernarg_segment_ptr 1
		.amdhsa_user_sgpr_dispatch_id 0
		.amdhsa_user_sgpr_flat_scratch_init 0
		.amdhsa_user_sgpr_kernarg_preload_length 0
		.amdhsa_user_sgpr_kernarg_preload_offset 0
		.amdhsa_user_sgpr_private_segment_size 0
		.amdhsa_uses_dynamic_stack 0
		.amdhsa_system_sgpr_private_segment_wavefront_offset 0
		.amdhsa_system_sgpr_workgroup_id_x 1
		.amdhsa_system_sgpr_workgroup_id_y 0
		.amdhsa_system_sgpr_workgroup_id_z 0
		.amdhsa_system_sgpr_workgroup_info 0
		.amdhsa_system_vgpr_workitem_id 0
		.amdhsa_next_free_vgpr 20
		.amdhsa_next_free_sgpr 26
		.amdhsa_accum_offset 20
		.amdhsa_reserve_vcc 1
		.amdhsa_reserve_flat_scratch 0
		.amdhsa_float_round_mode_32 0
		.amdhsa_float_round_mode_16_64 0
		.amdhsa_float_denorm_mode_32 3
		.amdhsa_float_denorm_mode_16_64 3
		.amdhsa_dx10_clamp 1
		.amdhsa_ieee_mode 1
		.amdhsa_fp16_overflow 0
		.amdhsa_tg_split 0
		.amdhsa_exception_fp_ieee_invalid_op 0
		.amdhsa_exception_fp_denorm_src 0
		.amdhsa_exception_fp_ieee_div_zero 0
		.amdhsa_exception_fp_ieee_overflow 0
		.amdhsa_exception_fp_ieee_underflow 0
		.amdhsa_exception_fp_ieee_inexact 0
		.amdhsa_exception_int_div_zero 0
	.end_amdhsa_kernel
	.section	.text._Z30fast_hadamard_transform_kernelI37fast_hadamard_transform_kernel_traitsILi1ELi3EfEEv18HadamardParamsBase,"axG",@progbits,_Z30fast_hadamard_transform_kernelI37fast_hadamard_transform_kernel_traitsILi1ELi3EfEEv18HadamardParamsBase,comdat
.Lfunc_end0:
	.size	_Z30fast_hadamard_transform_kernelI37fast_hadamard_transform_kernel_traitsILi1ELi3EfEEv18HadamardParamsBase, .Lfunc_end0-_Z30fast_hadamard_transform_kernelI37fast_hadamard_transform_kernel_traitsILi1ELi3EfEEv18HadamardParamsBase
                                        ; -- End function
	.section	.AMDGPU.csdata,"",@progbits
; Kernel info:
; codeLenInByte = 580
; NumSgprs: 30
; NumVgprs: 20
; NumAgprs: 0
; TotalNumVgprs: 20
; ScratchSize: 0
; MemoryBound: 0
; FloatMode: 240
; IeeeMode: 1
; LDSByteSize: 0 bytes/workgroup (compile time only)
; SGPRBlocks: 3
; VGPRBlocks: 2
; NumSGPRsForWavesPerEU: 30
; NumVGPRsForWavesPerEU: 20
; AccumOffset: 20
; Occupancy: 8
; WaveLimiterHint : 0
; COMPUTE_PGM_RSRC2:SCRATCH_EN: 0
; COMPUTE_PGM_RSRC2:USER_SGPR: 6
; COMPUTE_PGM_RSRC2:TRAP_HANDLER: 0
; COMPUTE_PGM_RSRC2:TGID_X_EN: 1
; COMPUTE_PGM_RSRC2:TGID_Y_EN: 0
; COMPUTE_PGM_RSRC2:TGID_Z_EN: 0
; COMPUTE_PGM_RSRC2:TIDIG_COMP_CNT: 0
; COMPUTE_PGM_RSRC3_GFX90A:ACCUM_OFFSET: 4
; COMPUTE_PGM_RSRC3_GFX90A:TG_SPLIT: 0
	.section	.text._Z30fast_hadamard_transform_kernelI37fast_hadamard_transform_kernel_traitsILi2ELi4EfEEv18HadamardParamsBase,"axG",@progbits,_Z30fast_hadamard_transform_kernelI37fast_hadamard_transform_kernel_traitsILi2ELi4EfEEv18HadamardParamsBase,comdat
	.protected	_Z30fast_hadamard_transform_kernelI37fast_hadamard_transform_kernel_traitsILi2ELi4EfEEv18HadamardParamsBase ; -- Begin function _Z30fast_hadamard_transform_kernelI37fast_hadamard_transform_kernel_traitsILi2ELi4EfEEv18HadamardParamsBase
	.globl	_Z30fast_hadamard_transform_kernelI37fast_hadamard_transform_kernel_traitsILi2ELi4EfEEv18HadamardParamsBase
	.p2align	8
	.type	_Z30fast_hadamard_transform_kernelI37fast_hadamard_transform_kernel_traitsILi2ELi4EfEEv18HadamardParamsBase,@function
_Z30fast_hadamard_transform_kernelI37fast_hadamard_transform_kernel_traitsILi2ELi4EfEEv18HadamardParamsBase: ; @_Z30fast_hadamard_transform_kernelI37fast_hadamard_transform_kernel_traitsILi2ELi4EfEEv18HadamardParamsBase
; %bb.0:
	s_load_dwordx4 s[12:15], s[4:5], 0x10
	s_load_dword s18, s[4:5], 0x4
	s_load_dwordx2 s[16:17], s[4:5], 0x20
	s_load_dwordx4 s[8:11], s[4:5], 0x28
	s_ashr_i32 s7, s6, 31
	s_waitcnt lgkmcnt(0)
	s_mul_hi_u32 s0, s12, s6
	s_mul_i32 s1, s12, s7
	s_add_i32 s0, s0, s1
	s_mul_i32 s1, s13, s6
	s_load_dword s4, s[4:5], 0x44
	s_add_i32 s1, s0, s1
	s_mul_i32 s0, s12, s6
	s_lshl_b64 s[0:1], s[0:1], 2
	s_add_u32 s2, s8, s0
	v_lshlrev_b32_e32 v1, 2, v0
	s_addc_u32 s3, s9, s1
	v_cmp_gt_u32_e32 vcc, s18, v1
	v_mov_b32_e32 v2, 0
	v_lshlrev_b32_e32 v12, 4, v0
	v_mov_b32_e32 v8, 0
	v_mov_b32_e32 v9, 0
	;; [unrolled: 1-line block ×4, first 2 shown]
	s_and_saveexec_b64 s[0:1], vcc
	s_cbranch_execz .LBB1_2
; %bb.1:
	global_load_dwordx4 v[4:7], v12, s[2:3]
	s_waitcnt vmcnt(0)
	v_mov_b32_e32 v8, v4
	v_mov_b32_e32 v9, v6
	;; [unrolled: 1-line block ×3, first 2 shown]
.LBB1_2:
	s_or_b64 exec, exec, s[0:1]
	s_waitcnt lgkmcnt(0)
	s_and_b32 s0, 0xffff, s4
	v_add_u32_e32 v1, s0, v0
	v_lshlrev_b32_e32 v3, 2, v1
	v_cmp_gt_u32_e64 s[0:1], s18, v3
	v_lshlrev_b32_e32 v13, 4, v1
	v_mov_b32_e32 v10, 0
	v_mov_b32_e32 v3, 0
	;; [unrolled: 1-line block ×3, first 2 shown]
	s_and_saveexec_b64 s[4:5], s[0:1]
	s_cbranch_execz .LBB1_4
; %bb.3:
	global_load_dwordx4 v[2:5], v13, s[2:3]
	s_waitcnt vmcnt(0)
	v_mov_b32_e32 v10, v3
	v_mov_b32_e32 v3, v4
	;; [unrolled: 1-line block ×3, first 2 shown]
.LBB1_4:
	s_or_b64 exec, exec, s[4:5]
	v_pk_add_f32 v[4:5], v[8:9], v[6:7] neg_lo:[0,1] neg_hi:[0,1]
	v_pk_add_f32 v[6:7], v[8:9], v[6:7]
	v_pk_add_f32 v[8:9], v[2:3], v[10:11]
	v_pk_add_f32 v[2:3], v[2:3], v[10:11] neg_lo:[0,1] neg_hi:[0,1]
	v_mov_b32_e32 v10, v7
	v_pk_add_f32 v[14:15], v[6:7], v[10:11]
	v_pk_add_f32 v[6:7], v[6:7], v[10:11] neg_lo:[0,1] neg_hi:[0,1]
	v_mov_b32_e32 v10, v9
	;; [unrolled: 3-line block ×3, first 2 shown]
	v_mbcnt_lo_u32_b32 v1, -1, 0
	v_pk_add_f32 v[18:19], v[4:5], v[10:11]
	v_pk_add_f32 v[4:5], v[4:5], v[10:11] neg_lo:[0,1] neg_hi:[0,1]
	v_mov_b32_e32 v10, v3
	v_mbcnt_hi_u32_b32 v1, -1, v1
	v_pk_add_f32 v[20:21], v[2:3], v[10:11]
	v_pk_add_f32 v[10:11], v[2:3], v[10:11] neg_lo:[0,1] neg_hi:[0,1]
	v_and_b32_e32 v3, 64, v1
	v_xor_b32_e32 v2, 1, v1
	v_add_u32_e32 v3, 64, v3
	v_cmp_lt_i32_e64 s[2:3], v2, v3
	v_cndmask_b32_e64 v1, v1, v2, s[2:3]
	v_lshlrev_b32_e32 v1, 2, v1
	ds_bpermute_b32 v2, v1, v14
	ds_bpermute_b32 v3, v1, v18
	v_cmp_eq_u32_e64 s[2:3], 0, v0
	ds_bpermute_b32 v22, v1, v6
	ds_bpermute_b32 v23, v1, v4
	ds_bpermute_b32 v24, v1, v16
	ds_bpermute_b32 v25, v1, v20
	ds_bpermute_b32 v26, v1, v8
	ds_bpermute_b32 v27, v1, v10
	v_cndmask_b32_e64 v1, -v18, v18, s[2:3]
	v_cndmask_b32_e64 v0, -v14, v14, s[2:3]
	s_waitcnt lgkmcnt(6)
	v_pk_add_f32 v[0:1], v[0:1], v[2:3]
	v_cndmask_b32_e64 v3, -v20, v20, s[2:3]
	v_cndmask_b32_e64 v2, -v16, v16, s[2:3]
	;; [unrolled: 1-line block ×6, first 2 shown]
	s_mul_i32 s2, s14, s7
	s_mul_hi_u32 s3, s14, s6
	s_add_i32 s2, s3, s2
	s_mul_i32 s3, s15, s6
	s_add_i32 s3, s2, s3
	s_mul_i32 s2, s14, s6
	s_lshl_b64 s[2:3], s[2:3], 2
	s_add_u32 s2, s10, s2
	s_waitcnt lgkmcnt(2)
	v_pk_add_f32 v[2:3], v[2:3], v[24:25]
	v_pk_add_f32 v[4:5], v[4:5], v[22:23]
	s_waitcnt lgkmcnt(0)
	v_pk_add_f32 v[6:7], v[6:7], v[26:27]
	s_addc_u32 s3, s11, s3
	s_mov_b32 s17, s16
	s_and_saveexec_b64 s[4:5], vcc
	s_cbranch_execnz .LBB1_7
; %bb.5:
	s_or_b64 exec, exec, s[4:5]
	s_and_saveexec_b64 s[4:5], s[0:1]
	s_cbranch_execnz .LBB1_8
.LBB1_6:
	s_endpgm
.LBB1_7:
	v_pk_add_f32 v[8:9], v[0:1], v[2:3]
	v_pk_add_f32 v[10:11], v[4:5], v[6:7]
	v_pk_mul_f32 v[8:9], s[16:17], v[8:9]
	v_pk_mul_f32 v[10:11], s[16:17], v[10:11]
	global_store_dwordx4 v12, v[8:11], s[2:3]
	s_or_b64 exec, exec, s[4:5]
	s_and_saveexec_b64 s[4:5], s[0:1]
	s_cbranch_execz .LBB1_6
.LBB1_8:
	v_pk_add_f32 v[0:1], v[0:1], v[2:3] neg_lo:[0,1] neg_hi:[0,1]
	v_pk_add_f32 v[2:3], v[4:5], v[6:7] neg_lo:[0,1] neg_hi:[0,1]
	v_pk_mul_f32 v[0:1], s[16:17], v[0:1]
	v_pk_mul_f32 v[2:3], s[16:17], v[2:3]
	global_store_dwordx4 v13, v[0:3], s[2:3]
	s_endpgm
	.section	.rodata,"a",@progbits
	.p2align	6, 0x0
	.amdhsa_kernel _Z30fast_hadamard_transform_kernelI37fast_hadamard_transform_kernel_traitsILi2ELi4EfEEv18HadamardParamsBase
		.amdhsa_group_segment_fixed_size 0
		.amdhsa_private_segment_fixed_size 0
		.amdhsa_kernarg_size 312
		.amdhsa_user_sgpr_count 6
		.amdhsa_user_sgpr_private_segment_buffer 1
		.amdhsa_user_sgpr_dispatch_ptr 0
		.amdhsa_user_sgpr_queue_ptr 0
		.amdhsa_user_sgpr_kernarg_segment_ptr 1
		.amdhsa_user_sgpr_dispatch_id 0
		.amdhsa_user_sgpr_flat_scratch_init 0
		.amdhsa_user_sgpr_kernarg_preload_length 0
		.amdhsa_user_sgpr_kernarg_preload_offset 0
		.amdhsa_user_sgpr_private_segment_size 0
		.amdhsa_uses_dynamic_stack 0
		.amdhsa_system_sgpr_private_segment_wavefront_offset 0
		.amdhsa_system_sgpr_workgroup_id_x 1
		.amdhsa_system_sgpr_workgroup_id_y 0
		.amdhsa_system_sgpr_workgroup_id_z 0
		.amdhsa_system_sgpr_workgroup_info 0
		.amdhsa_system_vgpr_workitem_id 0
		.amdhsa_next_free_vgpr 28
		.amdhsa_next_free_sgpr 19
		.amdhsa_accum_offset 28
		.amdhsa_reserve_vcc 1
		.amdhsa_reserve_flat_scratch 0
		.amdhsa_float_round_mode_32 0
		.amdhsa_float_round_mode_16_64 0
		.amdhsa_float_denorm_mode_32 3
		.amdhsa_float_denorm_mode_16_64 3
		.amdhsa_dx10_clamp 1
		.amdhsa_ieee_mode 1
		.amdhsa_fp16_overflow 0
		.amdhsa_tg_split 0
		.amdhsa_exception_fp_ieee_invalid_op 0
		.amdhsa_exception_fp_denorm_src 0
		.amdhsa_exception_fp_ieee_div_zero 0
		.amdhsa_exception_fp_ieee_overflow 0
		.amdhsa_exception_fp_ieee_underflow 0
		.amdhsa_exception_fp_ieee_inexact 0
		.amdhsa_exception_int_div_zero 0
	.end_amdhsa_kernel
	.section	.text._Z30fast_hadamard_transform_kernelI37fast_hadamard_transform_kernel_traitsILi2ELi4EfEEv18HadamardParamsBase,"axG",@progbits,_Z30fast_hadamard_transform_kernelI37fast_hadamard_transform_kernel_traitsILi2ELi4EfEEv18HadamardParamsBase,comdat
.Lfunc_end1:
	.size	_Z30fast_hadamard_transform_kernelI37fast_hadamard_transform_kernel_traitsILi2ELi4EfEEv18HadamardParamsBase, .Lfunc_end1-_Z30fast_hadamard_transform_kernelI37fast_hadamard_transform_kernel_traitsILi2ELi4EfEEv18HadamardParamsBase
                                        ; -- End function
	.section	.AMDGPU.csdata,"",@progbits
; Kernel info:
; codeLenInByte = 732
; NumSgprs: 23
; NumVgprs: 28
; NumAgprs: 0
; TotalNumVgprs: 28
; ScratchSize: 0
; MemoryBound: 0
; FloatMode: 240
; IeeeMode: 1
; LDSByteSize: 0 bytes/workgroup (compile time only)
; SGPRBlocks: 2
; VGPRBlocks: 3
; NumSGPRsForWavesPerEU: 23
; NumVGPRsForWavesPerEU: 28
; AccumOffset: 28
; Occupancy: 8
; WaveLimiterHint : 0
; COMPUTE_PGM_RSRC2:SCRATCH_EN: 0
; COMPUTE_PGM_RSRC2:USER_SGPR: 6
; COMPUTE_PGM_RSRC2:TRAP_HANDLER: 0
; COMPUTE_PGM_RSRC2:TGID_X_EN: 1
; COMPUTE_PGM_RSRC2:TGID_Y_EN: 0
; COMPUTE_PGM_RSRC2:TGID_Z_EN: 0
; COMPUTE_PGM_RSRC2:TIDIG_COMP_CNT: 0
; COMPUTE_PGM_RSRC3_GFX90A:ACCUM_OFFSET: 6
; COMPUTE_PGM_RSRC3_GFX90A:TG_SPLIT: 0
	.section	.text._Z30fast_hadamard_transform_kernelI37fast_hadamard_transform_kernel_traitsILi4ELi5EfEEv18HadamardParamsBase,"axG",@progbits,_Z30fast_hadamard_transform_kernelI37fast_hadamard_transform_kernel_traitsILi4ELi5EfEEv18HadamardParamsBase,comdat
	.protected	_Z30fast_hadamard_transform_kernelI37fast_hadamard_transform_kernel_traitsILi4ELi5EfEEv18HadamardParamsBase ; -- Begin function _Z30fast_hadamard_transform_kernelI37fast_hadamard_transform_kernel_traitsILi4ELi5EfEEv18HadamardParamsBase
	.globl	_Z30fast_hadamard_transform_kernelI37fast_hadamard_transform_kernel_traitsILi4ELi5EfEEv18HadamardParamsBase
	.p2align	8
	.type	_Z30fast_hadamard_transform_kernelI37fast_hadamard_transform_kernel_traitsILi4ELi5EfEEv18HadamardParamsBase,@function
_Z30fast_hadamard_transform_kernelI37fast_hadamard_transform_kernel_traitsILi4ELi5EfEEv18HadamardParamsBase: ; @_Z30fast_hadamard_transform_kernelI37fast_hadamard_transform_kernel_traitsILi4ELi5EfEEv18HadamardParamsBase
; %bb.0:
	s_load_dwordx4 s[12:15], s[4:5], 0x10
	s_load_dword s18, s[4:5], 0x4
	s_load_dwordx2 s[16:17], s[4:5], 0x20
	s_load_dwordx4 s[8:11], s[4:5], 0x28
	s_ashr_i32 s7, s6, 31
	s_waitcnt lgkmcnt(0)
	s_mul_hi_u32 s0, s12, s6
	s_mul_i32 s1, s12, s7
	s_add_i32 s0, s0, s1
	s_mul_i32 s1, s13, s6
	s_load_dword s4, s[4:5], 0x44
	s_add_i32 s1, s0, s1
	s_mul_i32 s0, s12, s6
	s_lshl_b64 s[0:1], s[0:1], 2
	s_add_u32 s2, s8, s0
	v_lshlrev_b32_e32 v1, 2, v0
	s_addc_u32 s3, s9, s1
	v_cmp_gt_u32_e32 vcc, s18, v1
	v_mov_b32_e32 v2, 0
	v_lshlrev_b32_e32 v12, 4, v0
	v_mov_b32_e32 v8, 0
	v_mov_b32_e32 v9, 0
	;; [unrolled: 1-line block ×4, first 2 shown]
	s_and_saveexec_b64 s[0:1], vcc
	s_cbranch_execz .LBB2_2
; %bb.1:
	global_load_dwordx4 v[4:7], v12, s[2:3]
	s_waitcnt vmcnt(0)
	v_mov_b32_e32 v8, v4
	v_mov_b32_e32 v9, v6
	;; [unrolled: 1-line block ×3, first 2 shown]
.LBB2_2:
	s_or_b64 exec, exec, s[0:1]
	s_waitcnt lgkmcnt(0)
	s_and_b32 s0, 0xffff, s4
	v_add_u32_e32 v1, s0, v0
	v_lshlrev_b32_e32 v3, 2, v1
	v_cmp_gt_u32_e64 s[0:1], s18, v3
	v_lshlrev_b32_e32 v13, 4, v1
	v_mov_b32_e32 v10, 0
	v_mov_b32_e32 v3, 0
	;; [unrolled: 1-line block ×3, first 2 shown]
	s_and_saveexec_b64 s[4:5], s[0:1]
	s_cbranch_execz .LBB2_4
; %bb.3:
	global_load_dwordx4 v[2:5], v13, s[2:3]
	s_waitcnt vmcnt(0)
	v_mov_b32_e32 v10, v3
	v_mov_b32_e32 v3, v4
	;; [unrolled: 1-line block ×3, first 2 shown]
.LBB2_4:
	s_or_b64 exec, exec, s[4:5]
	v_pk_add_f32 v[4:5], v[8:9], v[6:7] neg_lo:[0,1] neg_hi:[0,1]
	v_pk_add_f32 v[6:7], v[8:9], v[6:7]
	v_pk_add_f32 v[8:9], v[2:3], v[10:11]
	v_pk_add_f32 v[2:3], v[2:3], v[10:11] neg_lo:[0,1] neg_hi:[0,1]
	v_mov_b32_e32 v10, v7
	v_pk_add_f32 v[14:15], v[6:7], v[10:11]
	v_pk_add_f32 v[6:7], v[6:7], v[10:11] neg_lo:[0,1] neg_hi:[0,1]
	v_mov_b32_e32 v10, v9
	;; [unrolled: 3-line block ×3, first 2 shown]
	v_mbcnt_lo_u32_b32 v1, -1, 0
	v_pk_add_f32 v[18:19], v[4:5], v[10:11]
	v_pk_add_f32 v[4:5], v[4:5], v[10:11] neg_lo:[0,1] neg_hi:[0,1]
	v_mov_b32_e32 v10, v3
	v_mbcnt_hi_u32_b32 v1, -1, v1
	v_pk_add_f32 v[20:21], v[2:3], v[10:11]
	v_pk_add_f32 v[10:11], v[2:3], v[10:11] neg_lo:[0,1] neg_hi:[0,1]
	v_and_b32_e32 v2, 64, v1
	v_add_u32_e32 v5, 64, v2
	v_xor_b32_e32 v2, 1, v1
	v_cmp_lt_i32_e64 s[2:3], v2, v5
	v_cndmask_b32_e64 v2, v1, v2, s[2:3]
	v_lshlrev_b32_e32 v9, 2, v2
	ds_bpermute_b32 v2, v9, v14
	ds_bpermute_b32 v3, v9, v18
	v_and_b32_e32 v7, 1, v0
	ds_bpermute_b32 v22, v9, v6
	ds_bpermute_b32 v23, v9, v4
	;; [unrolled: 1-line block ×6, first 2 shown]
	v_and_b32_e32 v9, 2, v0
	v_xor_b32_e32 v0, 2, v1
	v_cmp_lt_i32_e64 s[2:3], v0, v5
	v_cndmask_b32_e64 v0, v1, v0, s[2:3]
	v_cmp_eq_u32_e64 s[2:3], 0, v7
	v_lshlrev_b32_e32 v11, 2, v0
	v_cndmask_b32_e64 v1, -v18, v18, s[2:3]
	v_cndmask_b32_e64 v0, -v14, v14, s[2:3]
	s_waitcnt lgkmcnt(6)
	v_pk_add_f32 v[0:1], v[0:1], v[2:3]
	v_cndmask_b32_e64 v3, -v20, v20, s[2:3]
	v_cndmask_b32_e64 v2, -v16, v16, s[2:3]
	v_cndmask_b32_e64 v5, -v4, v4, s[2:3]
	v_cndmask_b32_e64 v4, -v6, v6, s[2:3]
	v_cndmask_b32_e64 v7, -v10, v10, s[2:3]
	v_cndmask_b32_e64 v6, -v8, v8, s[2:3]
	s_waitcnt lgkmcnt(2)
	v_pk_add_f32 v[2:3], v[2:3], v[24:25]
	v_pk_add_f32 v[4:5], v[4:5], v[22:23]
	s_waitcnt lgkmcnt(0)
	v_pk_add_f32 v[6:7], v[6:7], v[26:27]
	ds_bpermute_b32 v14, v11, v0
	ds_bpermute_b32 v15, v11, v1
	v_cmp_eq_u32_e64 s[4:5], 0, v9
	ds_bpermute_b32 v16, v11, v2
	ds_bpermute_b32 v17, v11, v3
	;; [unrolled: 1-line block ×6, first 2 shown]
	s_mul_i32 s2, s14, s7
	s_mul_hi_u32 s3, s14, s6
	s_add_i32 s2, s3, s2
	s_mul_i32 s3, s15, s6
	s_add_i32 s3, s2, s3
	s_mul_i32 s2, s14, s6
	s_lshl_b64 s[2:3], s[2:3], 2
	v_cndmask_b32_e64 v1, -v1, v1, s[4:5]
	v_cndmask_b32_e64 v0, -v0, v0, s[4:5]
	v_cndmask_b32_e64 v3, -v3, v3, s[4:5]
	v_cndmask_b32_e64 v2, -v2, v2, s[4:5]
	v_cndmask_b32_e64 v5, -v5, v5, s[4:5]
	v_cndmask_b32_e64 v4, -v4, v4, s[4:5]
	v_cndmask_b32_e64 v7, -v7, v7, s[4:5]
	v_cndmask_b32_e64 v6, -v6, v6, s[4:5]
	s_add_u32 s2, s10, s2
	s_waitcnt lgkmcnt(6)
	v_pk_add_f32 v[0:1], v[0:1], v[14:15]
	s_waitcnt lgkmcnt(4)
	v_pk_add_f32 v[2:3], v[2:3], v[16:17]
	;; [unrolled: 2-line block ×4, first 2 shown]
	s_addc_u32 s3, s11, s3
	s_mov_b32 s17, s16
	s_and_saveexec_b64 s[4:5], vcc
	s_cbranch_execnz .LBB2_7
; %bb.5:
	s_or_b64 exec, exec, s[4:5]
	s_and_saveexec_b64 s[4:5], s[0:1]
	s_cbranch_execnz .LBB2_8
.LBB2_6:
	s_endpgm
.LBB2_7:
	v_pk_add_f32 v[8:9], v[0:1], v[2:3]
	v_pk_add_f32 v[10:11], v[4:5], v[6:7]
	v_pk_mul_f32 v[8:9], s[16:17], v[8:9]
	v_pk_mul_f32 v[10:11], s[16:17], v[10:11]
	global_store_dwordx4 v12, v[8:11], s[2:3]
	s_or_b64 exec, exec, s[4:5]
	s_and_saveexec_b64 s[4:5], s[0:1]
	s_cbranch_execz .LBB2_6
.LBB2_8:
	v_pk_add_f32 v[0:1], v[0:1], v[2:3] neg_lo:[0,1] neg_hi:[0,1]
	v_pk_add_f32 v[2:3], v[4:5], v[6:7] neg_lo:[0,1] neg_hi:[0,1]
	v_pk_mul_f32 v[0:1], s[16:17], v[0:1]
	v_pk_mul_f32 v[2:3], s[16:17], v[2:3]
	global_store_dwordx4 v13, v[0:3], s[2:3]
	s_endpgm
	.section	.rodata,"a",@progbits
	.p2align	6, 0x0
	.amdhsa_kernel _Z30fast_hadamard_transform_kernelI37fast_hadamard_transform_kernel_traitsILi4ELi5EfEEv18HadamardParamsBase
		.amdhsa_group_segment_fixed_size 0
		.amdhsa_private_segment_fixed_size 0
		.amdhsa_kernarg_size 312
		.amdhsa_user_sgpr_count 6
		.amdhsa_user_sgpr_private_segment_buffer 1
		.amdhsa_user_sgpr_dispatch_ptr 0
		.amdhsa_user_sgpr_queue_ptr 0
		.amdhsa_user_sgpr_kernarg_segment_ptr 1
		.amdhsa_user_sgpr_dispatch_id 0
		.amdhsa_user_sgpr_flat_scratch_init 0
		.amdhsa_user_sgpr_kernarg_preload_length 0
		.amdhsa_user_sgpr_kernarg_preload_offset 0
		.amdhsa_user_sgpr_private_segment_size 0
		.amdhsa_uses_dynamic_stack 0
		.amdhsa_system_sgpr_private_segment_wavefront_offset 0
		.amdhsa_system_sgpr_workgroup_id_x 1
		.amdhsa_system_sgpr_workgroup_id_y 0
		.amdhsa_system_sgpr_workgroup_id_z 0
		.amdhsa_system_sgpr_workgroup_info 0
		.amdhsa_system_vgpr_workitem_id 0
		.amdhsa_next_free_vgpr 28
		.amdhsa_next_free_sgpr 19
		.amdhsa_accum_offset 28
		.amdhsa_reserve_vcc 1
		.amdhsa_reserve_flat_scratch 0
		.amdhsa_float_round_mode_32 0
		.amdhsa_float_round_mode_16_64 0
		.amdhsa_float_denorm_mode_32 3
		.amdhsa_float_denorm_mode_16_64 3
		.amdhsa_dx10_clamp 1
		.amdhsa_ieee_mode 1
		.amdhsa_fp16_overflow 0
		.amdhsa_tg_split 0
		.amdhsa_exception_fp_ieee_invalid_op 0
		.amdhsa_exception_fp_denorm_src 0
		.amdhsa_exception_fp_ieee_div_zero 0
		.amdhsa_exception_fp_ieee_overflow 0
		.amdhsa_exception_fp_ieee_underflow 0
		.amdhsa_exception_fp_ieee_inexact 0
		.amdhsa_exception_int_div_zero 0
	.end_amdhsa_kernel
	.section	.text._Z30fast_hadamard_transform_kernelI37fast_hadamard_transform_kernel_traitsILi4ELi5EfEEv18HadamardParamsBase,"axG",@progbits,_Z30fast_hadamard_transform_kernelI37fast_hadamard_transform_kernel_traitsILi4ELi5EfEEv18HadamardParamsBase,comdat
.Lfunc_end2:
	.size	_Z30fast_hadamard_transform_kernelI37fast_hadamard_transform_kernel_traitsILi4ELi5EfEEv18HadamardParamsBase, .Lfunc_end2-_Z30fast_hadamard_transform_kernelI37fast_hadamard_transform_kernel_traitsILi4ELi5EfEEv18HadamardParamsBase
                                        ; -- End function
	.section	.AMDGPU.csdata,"",@progbits
; Kernel info:
; codeLenInByte = 948
; NumSgprs: 23
; NumVgprs: 28
; NumAgprs: 0
; TotalNumVgprs: 28
; ScratchSize: 0
; MemoryBound: 0
; FloatMode: 240
; IeeeMode: 1
; LDSByteSize: 0 bytes/workgroup (compile time only)
; SGPRBlocks: 2
; VGPRBlocks: 3
; NumSGPRsForWavesPerEU: 23
; NumVGPRsForWavesPerEU: 28
; AccumOffset: 28
; Occupancy: 8
; WaveLimiterHint : 0
; COMPUTE_PGM_RSRC2:SCRATCH_EN: 0
; COMPUTE_PGM_RSRC2:USER_SGPR: 6
; COMPUTE_PGM_RSRC2:TRAP_HANDLER: 0
; COMPUTE_PGM_RSRC2:TGID_X_EN: 1
; COMPUTE_PGM_RSRC2:TGID_Y_EN: 0
; COMPUTE_PGM_RSRC2:TGID_Z_EN: 0
; COMPUTE_PGM_RSRC2:TIDIG_COMP_CNT: 0
; COMPUTE_PGM_RSRC3_GFX90A:ACCUM_OFFSET: 6
; COMPUTE_PGM_RSRC3_GFX90A:TG_SPLIT: 0
	.section	.text._Z30fast_hadamard_transform_kernelI37fast_hadamard_transform_kernel_traitsILi8ELi6EfEEv18HadamardParamsBase,"axG",@progbits,_Z30fast_hadamard_transform_kernelI37fast_hadamard_transform_kernel_traitsILi8ELi6EfEEv18HadamardParamsBase,comdat
	.protected	_Z30fast_hadamard_transform_kernelI37fast_hadamard_transform_kernel_traitsILi8ELi6EfEEv18HadamardParamsBase ; -- Begin function _Z30fast_hadamard_transform_kernelI37fast_hadamard_transform_kernel_traitsILi8ELi6EfEEv18HadamardParamsBase
	.globl	_Z30fast_hadamard_transform_kernelI37fast_hadamard_transform_kernel_traitsILi8ELi6EfEEv18HadamardParamsBase
	.p2align	8
	.type	_Z30fast_hadamard_transform_kernelI37fast_hadamard_transform_kernel_traitsILi8ELi6EfEEv18HadamardParamsBase,@function
_Z30fast_hadamard_transform_kernelI37fast_hadamard_transform_kernel_traitsILi8ELi6EfEEv18HadamardParamsBase: ; @_Z30fast_hadamard_transform_kernelI37fast_hadamard_transform_kernel_traitsILi8ELi6EfEEv18HadamardParamsBase
; %bb.0:
	s_load_dwordx4 s[12:15], s[4:5], 0x10
	s_load_dword s18, s[4:5], 0x4
	s_load_dwordx2 s[16:17], s[4:5], 0x20
	s_load_dwordx4 s[8:11], s[4:5], 0x28
	s_ashr_i32 s7, s6, 31
	s_waitcnt lgkmcnt(0)
	s_mul_hi_u32 s0, s12, s6
	s_mul_i32 s1, s12, s7
	s_add_i32 s0, s0, s1
	s_mul_i32 s1, s13, s6
	s_load_dword s4, s[4:5], 0x44
	s_add_i32 s1, s0, s1
	s_mul_i32 s0, s12, s6
	s_lshl_b64 s[0:1], s[0:1], 2
	s_add_u32 s2, s8, s0
	v_lshlrev_b32_e32 v1, 2, v0
	s_addc_u32 s3, s9, s1
	v_cmp_gt_u32_e32 vcc, s18, v1
	v_mov_b32_e32 v2, 0
	v_lshlrev_b32_e32 v12, 4, v0
	v_mov_b32_e32 v8, 0
	v_mov_b32_e32 v9, 0
	;; [unrolled: 1-line block ×4, first 2 shown]
	s_and_saveexec_b64 s[0:1], vcc
	s_cbranch_execz .LBB3_2
; %bb.1:
	global_load_dwordx4 v[4:7], v12, s[2:3]
	s_waitcnt vmcnt(0)
	v_mov_b32_e32 v8, v4
	v_mov_b32_e32 v9, v6
	v_mov_b32_e32 v6, v5
.LBB3_2:
	s_or_b64 exec, exec, s[0:1]
	s_waitcnt lgkmcnt(0)
	s_and_b32 s0, 0xffff, s4
	v_add_u32_e32 v1, s0, v0
	v_lshlrev_b32_e32 v3, 2, v1
	v_cmp_gt_u32_e64 s[0:1], s18, v3
	v_lshlrev_b32_e32 v13, 4, v1
	v_mov_b32_e32 v10, 0
	v_mov_b32_e32 v3, 0
	;; [unrolled: 1-line block ×3, first 2 shown]
	s_and_saveexec_b64 s[4:5], s[0:1]
	s_cbranch_execz .LBB3_4
; %bb.3:
	global_load_dwordx4 v[2:5], v13, s[2:3]
	s_waitcnt vmcnt(0)
	v_mov_b32_e32 v10, v3
	v_mov_b32_e32 v3, v4
	;; [unrolled: 1-line block ×3, first 2 shown]
.LBB3_4:
	s_or_b64 exec, exec, s[4:5]
	v_pk_add_f32 v[4:5], v[8:9], v[6:7] neg_lo:[0,1] neg_hi:[0,1]
	v_pk_add_f32 v[6:7], v[8:9], v[6:7]
	v_pk_add_f32 v[8:9], v[2:3], v[10:11]
	v_pk_add_f32 v[2:3], v[2:3], v[10:11] neg_lo:[0,1] neg_hi:[0,1]
	v_mov_b32_e32 v10, v7
	v_pk_add_f32 v[14:15], v[6:7], v[10:11]
	v_pk_add_f32 v[6:7], v[6:7], v[10:11] neg_lo:[0,1] neg_hi:[0,1]
	v_mov_b32_e32 v10, v9
	;; [unrolled: 3-line block ×3, first 2 shown]
	v_mbcnt_lo_u32_b32 v1, -1, 0
	v_pk_add_f32 v[18:19], v[4:5], v[10:11]
	v_pk_add_f32 v[4:5], v[4:5], v[10:11] neg_lo:[0,1] neg_hi:[0,1]
	v_mov_b32_e32 v10, v3
	v_mbcnt_hi_u32_b32 v1, -1, v1
	v_pk_add_f32 v[20:21], v[2:3], v[10:11]
	v_pk_add_f32 v[10:11], v[2:3], v[10:11] neg_lo:[0,1] neg_hi:[0,1]
	v_and_b32_e32 v2, 64, v1
	v_add_u32_e32 v5, 64, v2
	v_xor_b32_e32 v2, 1, v1
	v_cmp_lt_i32_e64 s[2:3], v2, v5
	v_cndmask_b32_e64 v2, v1, v2, s[2:3]
	v_lshlrev_b32_e32 v9, 2, v2
	ds_bpermute_b32 v2, v9, v14
	ds_bpermute_b32 v3, v9, v18
	v_xor_b32_e32 v11, 2, v1
	v_and_b32_e32 v7, 1, v0
	ds_bpermute_b32 v22, v9, v6
	ds_bpermute_b32 v23, v9, v4
	;; [unrolled: 1-line block ×6, first 2 shown]
	v_and_b32_e32 v9, 2, v0
	v_cmp_lt_i32_e64 s[2:3], v11, v5
	v_and_b32_e32 v19, 4, v0
	v_xor_b32_e32 v0, 4, v1
	v_cndmask_b32_e64 v11, v1, v11, s[2:3]
	v_cmp_lt_i32_e64 s[2:3], v0, v5
	v_cndmask_b32_e64 v0, v1, v0, s[2:3]
	v_cmp_eq_u32_e64 s[2:3], 0, v7
	v_lshlrev_b32_e32 v21, 2, v0
	v_cndmask_b32_e64 v1, -v18, v18, s[2:3]
	v_cndmask_b32_e64 v0, -v14, v14, s[2:3]
	s_waitcnt lgkmcnt(6)
	v_pk_add_f32 v[0:1], v[0:1], v[2:3]
	v_cndmask_b32_e64 v3, -v20, v20, s[2:3]
	v_cndmask_b32_e64 v2, -v16, v16, s[2:3]
	;; [unrolled: 1-line block ×6, first 2 shown]
	v_lshlrev_b32_e32 v11, 2, v11
	s_waitcnt lgkmcnt(2)
	v_pk_add_f32 v[2:3], v[2:3], v[24:25]
	v_pk_add_f32 v[4:5], v[4:5], v[22:23]
	s_waitcnt lgkmcnt(0)
	v_pk_add_f32 v[6:7], v[6:7], v[26:27]
	ds_bpermute_b32 v14, v11, v0
	ds_bpermute_b32 v15, v11, v1
	v_cmp_eq_u32_e64 s[4:5], 0, v9
	ds_bpermute_b32 v16, v11, v2
	ds_bpermute_b32 v17, v11, v3
	;; [unrolled: 1-line block ×6, first 2 shown]
	v_cndmask_b32_e64 v1, -v1, v1, s[4:5]
	v_cndmask_b32_e64 v0, -v0, v0, s[4:5]
	;; [unrolled: 1-line block ×8, first 2 shown]
	s_waitcnt lgkmcnt(6)
	v_pk_add_f32 v[0:1], v[0:1], v[14:15]
	s_waitcnt lgkmcnt(4)
	v_pk_add_f32 v[2:3], v[2:3], v[16:17]
	;; [unrolled: 2-line block ×4, first 2 shown]
	ds_bpermute_b32 v14, v21, v0
	ds_bpermute_b32 v15, v21, v1
	;; [unrolled: 1-line block ×8, first 2 shown]
	s_mul_i32 s2, s14, s7
	s_mul_hi_u32 s3, s14, s6
	s_add_i32 s2, s3, s2
	s_mul_i32 s3, s15, s6
	s_add_i32 s3, s2, s3
	s_mul_i32 s2, s14, s6
	v_cmp_eq_u32_e64 s[8:9], 0, v19
	s_lshl_b64 s[2:3], s[2:3], 2
	v_cndmask_b32_e64 v1, -v1, v1, s[8:9]
	v_cndmask_b32_e64 v0, -v0, v0, s[8:9]
	;; [unrolled: 1-line block ×8, first 2 shown]
	s_add_u32 s2, s10, s2
	s_waitcnt lgkmcnt(6)
	v_pk_add_f32 v[0:1], v[0:1], v[14:15]
	s_waitcnt lgkmcnt(4)
	v_pk_add_f32 v[2:3], v[2:3], v[16:17]
	;; [unrolled: 2-line block ×4, first 2 shown]
	s_addc_u32 s3, s11, s3
	s_mov_b32 s17, s16
	s_and_saveexec_b64 s[4:5], vcc
	s_cbranch_execnz .LBB3_7
; %bb.5:
	s_or_b64 exec, exec, s[4:5]
	s_and_saveexec_b64 s[4:5], s[0:1]
	s_cbranch_execnz .LBB3_8
.LBB3_6:
	s_endpgm
.LBB3_7:
	v_pk_add_f32 v[8:9], v[0:1], v[2:3]
	v_pk_add_f32 v[10:11], v[4:5], v[6:7]
	v_pk_mul_f32 v[8:9], s[16:17], v[8:9]
	v_pk_mul_f32 v[10:11], s[16:17], v[10:11]
	global_store_dwordx4 v12, v[8:11], s[2:3]
	s_or_b64 exec, exec, s[4:5]
	s_and_saveexec_b64 s[4:5], s[0:1]
	s_cbranch_execz .LBB3_6
.LBB3_8:
	v_pk_add_f32 v[0:1], v[0:1], v[2:3] neg_lo:[0,1] neg_hi:[0,1]
	v_pk_add_f32 v[2:3], v[4:5], v[6:7] neg_lo:[0,1] neg_hi:[0,1]
	v_pk_mul_f32 v[0:1], s[16:17], v[0:1]
	v_pk_mul_f32 v[2:3], s[16:17], v[2:3]
	global_store_dwordx4 v13, v[0:3], s[2:3]
	s_endpgm
	.section	.rodata,"a",@progbits
	.p2align	6, 0x0
	.amdhsa_kernel _Z30fast_hadamard_transform_kernelI37fast_hadamard_transform_kernel_traitsILi8ELi6EfEEv18HadamardParamsBase
		.amdhsa_group_segment_fixed_size 0
		.amdhsa_private_segment_fixed_size 0
		.amdhsa_kernarg_size 312
		.amdhsa_user_sgpr_count 6
		.amdhsa_user_sgpr_private_segment_buffer 1
		.amdhsa_user_sgpr_dispatch_ptr 0
		.amdhsa_user_sgpr_queue_ptr 0
		.amdhsa_user_sgpr_kernarg_segment_ptr 1
		.amdhsa_user_sgpr_dispatch_id 0
		.amdhsa_user_sgpr_flat_scratch_init 0
		.amdhsa_user_sgpr_kernarg_preload_length 0
		.amdhsa_user_sgpr_kernarg_preload_offset 0
		.amdhsa_user_sgpr_private_segment_size 0
		.amdhsa_uses_dynamic_stack 0
		.amdhsa_system_sgpr_private_segment_wavefront_offset 0
		.amdhsa_system_sgpr_workgroup_id_x 1
		.amdhsa_system_sgpr_workgroup_id_y 0
		.amdhsa_system_sgpr_workgroup_id_z 0
		.amdhsa_system_sgpr_workgroup_info 0
		.amdhsa_system_vgpr_workitem_id 0
		.amdhsa_next_free_vgpr 28
		.amdhsa_next_free_sgpr 19
		.amdhsa_accum_offset 28
		.amdhsa_reserve_vcc 1
		.amdhsa_reserve_flat_scratch 0
		.amdhsa_float_round_mode_32 0
		.amdhsa_float_round_mode_16_64 0
		.amdhsa_float_denorm_mode_32 3
		.amdhsa_float_denorm_mode_16_64 3
		.amdhsa_dx10_clamp 1
		.amdhsa_ieee_mode 1
		.amdhsa_fp16_overflow 0
		.amdhsa_tg_split 0
		.amdhsa_exception_fp_ieee_invalid_op 0
		.amdhsa_exception_fp_denorm_src 0
		.amdhsa_exception_fp_ieee_div_zero 0
		.amdhsa_exception_fp_ieee_overflow 0
		.amdhsa_exception_fp_ieee_underflow 0
		.amdhsa_exception_fp_ieee_inexact 0
		.amdhsa_exception_int_div_zero 0
	.end_amdhsa_kernel
	.section	.text._Z30fast_hadamard_transform_kernelI37fast_hadamard_transform_kernel_traitsILi8ELi6EfEEv18HadamardParamsBase,"axG",@progbits,_Z30fast_hadamard_transform_kernelI37fast_hadamard_transform_kernel_traitsILi8ELi6EfEEv18HadamardParamsBase,comdat
.Lfunc_end3:
	.size	_Z30fast_hadamard_transform_kernelI37fast_hadamard_transform_kernel_traitsILi8ELi6EfEEv18HadamardParamsBase, .Lfunc_end3-_Z30fast_hadamard_transform_kernelI37fast_hadamard_transform_kernel_traitsILi8ELi6EfEEv18HadamardParamsBase
                                        ; -- End function
	.section	.AMDGPU.csdata,"",@progbits
; Kernel info:
; codeLenInByte = 1160
; NumSgprs: 23
; NumVgprs: 28
; NumAgprs: 0
; TotalNumVgprs: 28
; ScratchSize: 0
; MemoryBound: 0
; FloatMode: 240
; IeeeMode: 1
; LDSByteSize: 0 bytes/workgroup (compile time only)
; SGPRBlocks: 2
; VGPRBlocks: 3
; NumSGPRsForWavesPerEU: 23
; NumVGPRsForWavesPerEU: 28
; AccumOffset: 28
; Occupancy: 8
; WaveLimiterHint : 0
; COMPUTE_PGM_RSRC2:SCRATCH_EN: 0
; COMPUTE_PGM_RSRC2:USER_SGPR: 6
; COMPUTE_PGM_RSRC2:TRAP_HANDLER: 0
; COMPUTE_PGM_RSRC2:TGID_X_EN: 1
; COMPUTE_PGM_RSRC2:TGID_Y_EN: 0
; COMPUTE_PGM_RSRC2:TGID_Z_EN: 0
; COMPUTE_PGM_RSRC2:TIDIG_COMP_CNT: 0
; COMPUTE_PGM_RSRC3_GFX90A:ACCUM_OFFSET: 6
; COMPUTE_PGM_RSRC3_GFX90A:TG_SPLIT: 0
	.section	.text._Z30fast_hadamard_transform_kernelI37fast_hadamard_transform_kernel_traitsILi16ELi7EfEEv18HadamardParamsBase,"axG",@progbits,_Z30fast_hadamard_transform_kernelI37fast_hadamard_transform_kernel_traitsILi16ELi7EfEEv18HadamardParamsBase,comdat
	.protected	_Z30fast_hadamard_transform_kernelI37fast_hadamard_transform_kernel_traitsILi16ELi7EfEEv18HadamardParamsBase ; -- Begin function _Z30fast_hadamard_transform_kernelI37fast_hadamard_transform_kernel_traitsILi16ELi7EfEEv18HadamardParamsBase
	.globl	_Z30fast_hadamard_transform_kernelI37fast_hadamard_transform_kernel_traitsILi16ELi7EfEEv18HadamardParamsBase
	.p2align	8
	.type	_Z30fast_hadamard_transform_kernelI37fast_hadamard_transform_kernel_traitsILi16ELi7EfEEv18HadamardParamsBase,@function
_Z30fast_hadamard_transform_kernelI37fast_hadamard_transform_kernel_traitsILi16ELi7EfEEv18HadamardParamsBase: ; @_Z30fast_hadamard_transform_kernelI37fast_hadamard_transform_kernel_traitsILi16ELi7EfEEv18HadamardParamsBase
; %bb.0:
	s_load_dwordx4 s[16:19], s[4:5], 0x10
	s_load_dword s8, s[4:5], 0x4
	s_load_dwordx2 s[20:21], s[4:5], 0x20
	s_load_dwordx4 s[12:15], s[4:5], 0x28
	s_ashr_i32 s7, s6, 31
	s_waitcnt lgkmcnt(0)
	s_mul_hi_u32 s0, s16, s6
	s_mul_i32 s1, s16, s7
	s_add_i32 s0, s0, s1
	s_mul_i32 s1, s17, s6
	s_load_dword s4, s[4:5], 0x44
	s_add_i32 s1, s0, s1
	s_mul_i32 s0, s16, s6
	s_lshl_b64 s[0:1], s[0:1], 2
	s_add_u32 s2, s12, s0
	v_lshlrev_b32_e32 v1, 2, v0
	s_addc_u32 s3, s13, s1
	v_cmp_gt_u32_e32 vcc, s8, v1
	v_mov_b32_e32 v2, 0
	v_lshlrev_b32_e32 v12, 4, v0
	v_mov_b32_e32 v8, 0
	v_mov_b32_e32 v9, 0
	v_mov_b32_e32 v6, 0
	v_mov_b32_e32 v7, 0
	s_and_saveexec_b64 s[0:1], vcc
	s_cbranch_execz .LBB4_2
; %bb.1:
	global_load_dwordx4 v[4:7], v12, s[2:3]
	s_waitcnt vmcnt(0)
	v_mov_b32_e32 v8, v4
	v_mov_b32_e32 v9, v6
	;; [unrolled: 1-line block ×3, first 2 shown]
.LBB4_2:
	s_or_b64 exec, exec, s[0:1]
	s_waitcnt lgkmcnt(0)
	s_and_b32 s0, 0xffff, s4
	v_add_u32_e32 v1, s0, v0
	v_lshlrev_b32_e32 v3, 2, v1
	v_cmp_gt_u32_e64 s[0:1], s8, v3
	v_lshlrev_b32_e32 v13, 4, v1
	v_mov_b32_e32 v10, 0
	v_mov_b32_e32 v3, 0
	;; [unrolled: 1-line block ×3, first 2 shown]
	s_and_saveexec_b64 s[4:5], s[0:1]
	s_cbranch_execz .LBB4_4
; %bb.3:
	global_load_dwordx4 v[2:5], v13, s[2:3]
	s_waitcnt vmcnt(0)
	v_mov_b32_e32 v10, v3
	v_mov_b32_e32 v3, v4
	v_mov_b32_e32 v11, v5
.LBB4_4:
	s_or_b64 exec, exec, s[4:5]
	v_pk_add_f32 v[4:5], v[8:9], v[6:7] neg_lo:[0,1] neg_hi:[0,1]
	v_pk_add_f32 v[6:7], v[8:9], v[6:7]
	v_pk_add_f32 v[8:9], v[2:3], v[10:11]
	v_pk_add_f32 v[2:3], v[2:3], v[10:11] neg_lo:[0,1] neg_hi:[0,1]
	v_mov_b32_e32 v10, v7
	v_pk_add_f32 v[14:15], v[6:7], v[10:11]
	v_pk_add_f32 v[6:7], v[6:7], v[10:11] neg_lo:[0,1] neg_hi:[0,1]
	v_mov_b32_e32 v10, v9
	v_pk_add_f32 v[16:17], v[8:9], v[10:11]
	v_pk_add_f32 v[8:9], v[8:9], v[10:11] neg_lo:[0,1] neg_hi:[0,1]
	v_mov_b32_e32 v10, v5
	v_mbcnt_lo_u32_b32 v1, -1, 0
	v_pk_add_f32 v[18:19], v[4:5], v[10:11]
	v_pk_add_f32 v[4:5], v[4:5], v[10:11] neg_lo:[0,1] neg_hi:[0,1]
	v_mov_b32_e32 v10, v3
	v_mbcnt_hi_u32_b32 v1, -1, v1
	v_pk_add_f32 v[20:21], v[2:3], v[10:11]
	v_pk_add_f32 v[10:11], v[2:3], v[10:11] neg_lo:[0,1] neg_hi:[0,1]
	v_and_b32_e32 v2, 64, v1
	v_add_u32_e32 v5, 64, v2
	v_xor_b32_e32 v2, 1, v1
	v_cmp_lt_i32_e64 s[2:3], v2, v5
	v_cndmask_b32_e64 v2, v1, v2, s[2:3]
	v_lshlrev_b32_e32 v9, 2, v2
	v_xor_b32_e32 v11, 2, v1
	ds_bpermute_b32 v2, v9, v14
	ds_bpermute_b32 v3, v9, v18
	v_cmp_lt_i32_e64 s[2:3], v11, v5
	v_xor_b32_e32 v15, 4, v1
	v_and_b32_e32 v7, 1, v0
	ds_bpermute_b32 v22, v9, v6
	ds_bpermute_b32 v23, v9, v4
	;; [unrolled: 1-line block ×6, first 2 shown]
	v_and_b32_e32 v9, 2, v0
	v_cndmask_b32_e64 v11, v1, v11, s[2:3]
	v_and_b32_e32 v19, 4, v0
	v_cmp_lt_i32_e64 s[2:3], v15, v5
	v_and_b32_e32 v28, 8, v0
	v_xor_b32_e32 v0, 8, v1
	v_cndmask_b32_e64 v15, v1, v15, s[2:3]
	v_cmp_lt_i32_e64 s[2:3], v0, v5
	v_cndmask_b32_e64 v0, v1, v0, s[2:3]
	v_cmp_eq_u32_e64 s[2:3], 0, v7
	v_lshlrev_b32_e32 v29, 2, v0
	v_cndmask_b32_e64 v1, -v18, v18, s[2:3]
	v_cndmask_b32_e64 v0, -v14, v14, s[2:3]
	s_waitcnt lgkmcnt(6)
	v_pk_add_f32 v[0:1], v[0:1], v[2:3]
	v_cndmask_b32_e64 v3, -v20, v20, s[2:3]
	v_cndmask_b32_e64 v2, -v16, v16, s[2:3]
	;; [unrolled: 1-line block ×6, first 2 shown]
	v_lshlrev_b32_e32 v11, 2, v11
	s_waitcnt lgkmcnt(2)
	v_pk_add_f32 v[2:3], v[2:3], v[24:25]
	v_pk_add_f32 v[4:5], v[4:5], v[22:23]
	s_waitcnt lgkmcnt(0)
	v_pk_add_f32 v[6:7], v[6:7], v[26:27]
	v_lshlrev_b32_e32 v21, 2, v15
	ds_bpermute_b32 v14, v11, v0
	ds_bpermute_b32 v15, v11, v1
	v_cmp_eq_u32_e64 s[4:5], 0, v9
	ds_bpermute_b32 v16, v11, v2
	ds_bpermute_b32 v17, v11, v3
	ds_bpermute_b32 v8, v11, v4
	ds_bpermute_b32 v9, v11, v5
	ds_bpermute_b32 v10, v11, v6
	ds_bpermute_b32 v11, v11, v7
	v_cndmask_b32_e64 v1, -v1, v1, s[4:5]
	v_cndmask_b32_e64 v0, -v0, v0, s[4:5]
	;; [unrolled: 1-line block ×8, first 2 shown]
	s_waitcnt lgkmcnt(6)
	v_pk_add_f32 v[0:1], v[0:1], v[14:15]
	s_waitcnt lgkmcnt(4)
	v_pk_add_f32 v[2:3], v[2:3], v[16:17]
	;; [unrolled: 2-line block ×4, first 2 shown]
	ds_bpermute_b32 v14, v21, v0
	ds_bpermute_b32 v15, v21, v1
	;; [unrolled: 1-line block ×8, first 2 shown]
	v_cmp_eq_u32_e64 s[8:9], 0, v19
	v_cndmask_b32_e64 v1, -v1, v1, s[8:9]
	v_cndmask_b32_e64 v0, -v0, v0, s[8:9]
	;; [unrolled: 1-line block ×8, first 2 shown]
	s_waitcnt lgkmcnt(6)
	v_pk_add_f32 v[0:1], v[0:1], v[14:15]
	s_waitcnt lgkmcnt(4)
	v_pk_add_f32 v[2:3], v[2:3], v[16:17]
	;; [unrolled: 2-line block ×4, first 2 shown]
	ds_bpermute_b32 v14, v29, v0
	ds_bpermute_b32 v15, v29, v1
	;; [unrolled: 1-line block ×8, first 2 shown]
	s_mul_i32 s2, s18, s7
	s_mul_hi_u32 s3, s18, s6
	s_add_i32 s2, s3, s2
	s_mul_i32 s3, s19, s6
	s_add_i32 s3, s2, s3
	s_mul_i32 s2, s18, s6
	v_cmp_eq_u32_e64 s[10:11], 0, v28
	s_lshl_b64 s[2:3], s[2:3], 2
	v_cndmask_b32_e64 v1, -v1, v1, s[10:11]
	v_cndmask_b32_e64 v0, -v0, v0, s[10:11]
	;; [unrolled: 1-line block ×8, first 2 shown]
	s_add_u32 s2, s14, s2
	s_waitcnt lgkmcnt(6)
	v_pk_add_f32 v[0:1], v[0:1], v[14:15]
	s_waitcnt lgkmcnt(4)
	v_pk_add_f32 v[2:3], v[2:3], v[16:17]
	;; [unrolled: 2-line block ×4, first 2 shown]
	s_addc_u32 s3, s15, s3
	s_mov_b32 s21, s20
	s_and_saveexec_b64 s[4:5], vcc
	s_cbranch_execnz .LBB4_7
; %bb.5:
	s_or_b64 exec, exec, s[4:5]
	s_and_saveexec_b64 s[4:5], s[0:1]
	s_cbranch_execnz .LBB4_8
.LBB4_6:
	s_endpgm
.LBB4_7:
	v_pk_add_f32 v[8:9], v[0:1], v[2:3]
	v_pk_add_f32 v[10:11], v[4:5], v[6:7]
	v_pk_mul_f32 v[8:9], s[20:21], v[8:9]
	v_pk_mul_f32 v[10:11], s[20:21], v[10:11]
	global_store_dwordx4 v12, v[8:11], s[2:3]
	s_or_b64 exec, exec, s[4:5]
	s_and_saveexec_b64 s[4:5], s[0:1]
	s_cbranch_execz .LBB4_6
.LBB4_8:
	v_pk_add_f32 v[0:1], v[0:1], v[2:3] neg_lo:[0,1] neg_hi:[0,1]
	v_pk_add_f32 v[2:3], v[4:5], v[6:7] neg_lo:[0,1] neg_hi:[0,1]
	v_pk_mul_f32 v[0:1], s[20:21], v[0:1]
	v_pk_mul_f32 v[2:3], s[20:21], v[2:3]
	global_store_dwordx4 v13, v[0:3], s[2:3]
	s_endpgm
	.section	.rodata,"a",@progbits
	.p2align	6, 0x0
	.amdhsa_kernel _Z30fast_hadamard_transform_kernelI37fast_hadamard_transform_kernel_traitsILi16ELi7EfEEv18HadamardParamsBase
		.amdhsa_group_segment_fixed_size 0
		.amdhsa_private_segment_fixed_size 0
		.amdhsa_kernarg_size 312
		.amdhsa_user_sgpr_count 6
		.amdhsa_user_sgpr_private_segment_buffer 1
		.amdhsa_user_sgpr_dispatch_ptr 0
		.amdhsa_user_sgpr_queue_ptr 0
		.amdhsa_user_sgpr_kernarg_segment_ptr 1
		.amdhsa_user_sgpr_dispatch_id 0
		.amdhsa_user_sgpr_flat_scratch_init 0
		.amdhsa_user_sgpr_kernarg_preload_length 0
		.amdhsa_user_sgpr_kernarg_preload_offset 0
		.amdhsa_user_sgpr_private_segment_size 0
		.amdhsa_uses_dynamic_stack 0
		.amdhsa_system_sgpr_private_segment_wavefront_offset 0
		.amdhsa_system_sgpr_workgroup_id_x 1
		.amdhsa_system_sgpr_workgroup_id_y 0
		.amdhsa_system_sgpr_workgroup_id_z 0
		.amdhsa_system_sgpr_workgroup_info 0
		.amdhsa_system_vgpr_workitem_id 0
		.amdhsa_next_free_vgpr 30
		.amdhsa_next_free_sgpr 22
		.amdhsa_accum_offset 32
		.amdhsa_reserve_vcc 1
		.amdhsa_reserve_flat_scratch 0
		.amdhsa_float_round_mode_32 0
		.amdhsa_float_round_mode_16_64 0
		.amdhsa_float_denorm_mode_32 3
		.amdhsa_float_denorm_mode_16_64 3
		.amdhsa_dx10_clamp 1
		.amdhsa_ieee_mode 1
		.amdhsa_fp16_overflow 0
		.amdhsa_tg_split 0
		.amdhsa_exception_fp_ieee_invalid_op 0
		.amdhsa_exception_fp_denorm_src 0
		.amdhsa_exception_fp_ieee_div_zero 0
		.amdhsa_exception_fp_ieee_overflow 0
		.amdhsa_exception_fp_ieee_underflow 0
		.amdhsa_exception_fp_ieee_inexact 0
		.amdhsa_exception_int_div_zero 0
	.end_amdhsa_kernel
	.section	.text._Z30fast_hadamard_transform_kernelI37fast_hadamard_transform_kernel_traitsILi16ELi7EfEEv18HadamardParamsBase,"axG",@progbits,_Z30fast_hadamard_transform_kernelI37fast_hadamard_transform_kernel_traitsILi16ELi7EfEEv18HadamardParamsBase,comdat
.Lfunc_end4:
	.size	_Z30fast_hadamard_transform_kernelI37fast_hadamard_transform_kernel_traitsILi16ELi7EfEEv18HadamardParamsBase, .Lfunc_end4-_Z30fast_hadamard_transform_kernelI37fast_hadamard_transform_kernel_traitsILi16ELi7EfEEv18HadamardParamsBase
                                        ; -- End function
	.section	.AMDGPU.csdata,"",@progbits
; Kernel info:
; codeLenInByte = 1372
; NumSgprs: 26
; NumVgprs: 30
; NumAgprs: 0
; TotalNumVgprs: 30
; ScratchSize: 0
; MemoryBound: 0
; FloatMode: 240
; IeeeMode: 1
; LDSByteSize: 0 bytes/workgroup (compile time only)
; SGPRBlocks: 3
; VGPRBlocks: 3
; NumSGPRsForWavesPerEU: 26
; NumVGPRsForWavesPerEU: 30
; AccumOffset: 32
; Occupancy: 8
; WaveLimiterHint : 0
; COMPUTE_PGM_RSRC2:SCRATCH_EN: 0
; COMPUTE_PGM_RSRC2:USER_SGPR: 6
; COMPUTE_PGM_RSRC2:TRAP_HANDLER: 0
; COMPUTE_PGM_RSRC2:TGID_X_EN: 1
; COMPUTE_PGM_RSRC2:TGID_Y_EN: 0
; COMPUTE_PGM_RSRC2:TGID_Z_EN: 0
; COMPUTE_PGM_RSRC2:TIDIG_COMP_CNT: 0
; COMPUTE_PGM_RSRC3_GFX90A:ACCUM_OFFSET: 7
; COMPUTE_PGM_RSRC3_GFX90A:TG_SPLIT: 0
	.section	.text._Z30fast_hadamard_transform_kernelI37fast_hadamard_transform_kernel_traitsILi32ELi8EfEEv18HadamardParamsBase,"axG",@progbits,_Z30fast_hadamard_transform_kernelI37fast_hadamard_transform_kernel_traitsILi32ELi8EfEEv18HadamardParamsBase,comdat
	.protected	_Z30fast_hadamard_transform_kernelI37fast_hadamard_transform_kernel_traitsILi32ELi8EfEEv18HadamardParamsBase ; -- Begin function _Z30fast_hadamard_transform_kernelI37fast_hadamard_transform_kernel_traitsILi32ELi8EfEEv18HadamardParamsBase
	.globl	_Z30fast_hadamard_transform_kernelI37fast_hadamard_transform_kernel_traitsILi32ELi8EfEEv18HadamardParamsBase
	.p2align	8
	.type	_Z30fast_hadamard_transform_kernelI37fast_hadamard_transform_kernel_traitsILi32ELi8EfEEv18HadamardParamsBase,@function
_Z30fast_hadamard_transform_kernelI37fast_hadamard_transform_kernel_traitsILi32ELi8EfEEv18HadamardParamsBase: ; @_Z30fast_hadamard_transform_kernelI37fast_hadamard_transform_kernel_traitsILi32ELi8EfEEv18HadamardParamsBase
; %bb.0:
	s_load_dwordx4 s[12:15], s[4:5], 0x10
	s_load_dword s18, s[4:5], 0x4
	s_load_dwordx2 s[16:17], s[4:5], 0x20
	s_load_dwordx4 s[8:11], s[4:5], 0x28
	s_ashr_i32 s7, s6, 31
	s_waitcnt lgkmcnt(0)
	s_mul_hi_u32 s0, s12, s6
	s_mul_i32 s1, s12, s7
	s_add_i32 s0, s0, s1
	s_mul_i32 s1, s13, s6
	s_load_dword s4, s[4:5], 0x44
	s_add_i32 s1, s0, s1
	s_mul_i32 s0, s12, s6
	s_lshl_b64 s[0:1], s[0:1], 2
	s_add_u32 s2, s8, s0
	v_lshlrev_b32_e32 v1, 2, v0
	s_addc_u32 s3, s9, s1
	v_cmp_gt_u32_e32 vcc, s18, v1
	v_mov_b32_e32 v2, 0
	v_lshlrev_b32_e32 v12, 4, v0
	v_mov_b32_e32 v8, 0
	v_mov_b32_e32 v9, 0
	;; [unrolled: 1-line block ×4, first 2 shown]
	s_and_saveexec_b64 s[0:1], vcc
	s_cbranch_execz .LBB5_2
; %bb.1:
	global_load_dwordx4 v[4:7], v12, s[2:3]
	s_waitcnt vmcnt(0)
	v_mov_b32_e32 v8, v4
	v_mov_b32_e32 v9, v6
	;; [unrolled: 1-line block ×3, first 2 shown]
.LBB5_2:
	s_or_b64 exec, exec, s[0:1]
	s_waitcnt lgkmcnt(0)
	s_and_b32 s0, 0xffff, s4
	v_add_u32_e32 v1, s0, v0
	v_lshlrev_b32_e32 v3, 2, v1
	v_cmp_gt_u32_e64 s[0:1], s18, v3
	v_lshlrev_b32_e32 v13, 4, v1
	v_mov_b32_e32 v10, 0
	v_mov_b32_e32 v3, 0
	v_mov_b32_e32 v11, 0
	s_and_saveexec_b64 s[4:5], s[0:1]
	s_cbranch_execz .LBB5_4
; %bb.3:
	global_load_dwordx4 v[2:5], v13, s[2:3]
	s_waitcnt vmcnt(0)
	v_mov_b32_e32 v10, v3
	v_mov_b32_e32 v3, v4
	;; [unrolled: 1-line block ×3, first 2 shown]
.LBB5_4:
	s_or_b64 exec, exec, s[4:5]
	v_pk_add_f32 v[4:5], v[8:9], v[6:7] neg_lo:[0,1] neg_hi:[0,1]
	v_pk_add_f32 v[6:7], v[8:9], v[6:7]
	v_pk_add_f32 v[8:9], v[2:3], v[10:11]
	v_pk_add_f32 v[2:3], v[2:3], v[10:11] neg_lo:[0,1] neg_hi:[0,1]
	v_mov_b32_e32 v10, v7
	v_pk_add_f32 v[14:15], v[6:7], v[10:11]
	v_pk_add_f32 v[6:7], v[6:7], v[10:11] neg_lo:[0,1] neg_hi:[0,1]
	v_mov_b32_e32 v10, v9
	;; [unrolled: 3-line block ×4, first 2 shown]
	v_mbcnt_lo_u32_b32 v1, -1, 0
	v_pk_add_f32 v[20:21], v[2:3], v[10:11]
	v_pk_add_f32 v[2:3], v[2:3], v[10:11] neg_lo:[0,1] neg_hi:[0,1]
	v_mbcnt_hi_u32_b32 v1, -1, v1
	v_and_b32_e32 v3, 64, v1
	v_add_u32_e32 v21, 64, v3
	v_xor_b32_e32 v3, 1, v1
	v_cmp_lt_i32_e64 s[2:3], v3, v21
	v_cndmask_b32_e64 v3, v1, v3, s[2:3]
	v_lshlrev_b32_e32 v3, 2, v3
	ds_bpermute_b32 v5, v3, v14
	v_and_b32_e32 v7, 1, v0
	v_cmp_eq_u32_e64 s[2:3], 0, v7
	ds_bpermute_b32 v9, v3, v18
	v_cndmask_b32_e64 v7, -v14, v14, s[2:3]
	s_waitcnt lgkmcnt(1)
	v_add_f32_e32 v5, v7, v5
	ds_bpermute_b32 v7, v3, v6
	v_cndmask_b32_e64 v10, -v18, v18, s[2:3]
	s_waitcnt lgkmcnt(1)
	v_add_f32_e32 v9, v10, v9
	;; [unrolled: 4-line block ×4, first 2 shown]
	v_cndmask_b32_e64 v10, -v16, v16, s[2:3]
	ds_bpermute_b32 v11, v3, v20
	s_waitcnt lgkmcnt(1)
	v_add_f32_e32 v7, v10, v7
	ds_bpermute_b32 v10, v3, v8
	ds_bpermute_b32 v3, v3, v2
	v_cndmask_b32_e64 v2, -v2, v2, s[2:3]
	v_cndmask_b32_e64 v14, -v20, v20, s[2:3]
	;; [unrolled: 1-line block ×3, first 2 shown]
	s_waitcnt lgkmcnt(1)
	v_add_f32_e32 v8, v8, v10
	s_waitcnt lgkmcnt(0)
	v_add_f32_e32 v2, v2, v3
	v_xor_b32_e32 v3, 2, v1
	v_cmp_lt_i32_e64 s[2:3], v3, v21
	v_cndmask_b32_e64 v3, v1, v3, s[2:3]
	v_lshlrev_b32_e32 v3, 2, v3
	ds_bpermute_b32 v10, v3, v5
	v_add_f32_e32 v11, v14, v11
	v_and_b32_e32 v14, 2, v0
	v_cmp_eq_u32_e64 s[2:3], 0, v14
	v_cndmask_b32_e64 v5, -v5, v5, s[2:3]
	s_waitcnt lgkmcnt(0)
	v_add_f32_e32 v5, v5, v10
	ds_bpermute_b32 v10, v3, v6
	v_cndmask_b32_e64 v6, -v6, v6, s[2:3]
	ds_bpermute_b32 v14, v3, v4
	v_cndmask_b32_e64 v4, -v4, v4, s[2:3]
	ds_bpermute_b32 v15, v3, v9
	s_waitcnt lgkmcnt(2)
	v_add_f32_e32 v6, v6, v10
	ds_bpermute_b32 v10, v3, v7
	v_cndmask_b32_e64 v7, -v7, v7, s[2:3]
	s_waitcnt lgkmcnt(2)
	v_add_f32_e32 v4, v4, v14
	ds_bpermute_b32 v14, v3, v11
	v_cndmask_b32_e64 v9, -v9, v9, s[2:3]
	s_waitcnt lgkmcnt(1)
	v_add_f32_e32 v7, v7, v10
	ds_bpermute_b32 v10, v3, v8
	ds_bpermute_b32 v3, v3, v2
	v_cndmask_b32_e64 v2, -v2, v2, s[2:3]
	v_cndmask_b32_e64 v11, -v11, v11, s[2:3]
	;; [unrolled: 1-line block ×3, first 2 shown]
	s_waitcnt lgkmcnt(1)
	v_add_f32_e32 v8, v8, v10
	s_waitcnt lgkmcnt(0)
	v_add_f32_e32 v2, v2, v3
	v_xor_b32_e32 v3, 4, v1
	v_cmp_lt_i32_e64 s[2:3], v3, v21
	v_cndmask_b32_e64 v3, v1, v3, s[2:3]
	v_lshlrev_b32_e32 v3, 2, v3
	ds_bpermute_b32 v10, v3, v5
	v_add_f32_e32 v11, v11, v14
	v_and_b32_e32 v14, 4, v0
	v_cmp_eq_u32_e64 s[2:3], 0, v14
	v_cndmask_b32_e64 v5, -v5, v5, s[2:3]
	s_waitcnt lgkmcnt(0)
	v_add_f32_e32 v5, v5, v10
	ds_bpermute_b32 v10, v3, v6
	v_add_f32_e32 v9, v9, v15
	ds_bpermute_b32 v14, v3, v4
	v_cndmask_b32_e64 v6, -v6, v6, s[2:3]
	ds_bpermute_b32 v15, v3, v9
	s_waitcnt lgkmcnt(2)
	v_add_f32_e32 v10, v6, v10
	ds_bpermute_b32 v6, v3, v7
	v_cndmask_b32_e64 v4, -v4, v4, s[2:3]
	v_cndmask_b32_e64 v9, -v9, v9, s[2:3]
	s_waitcnt lgkmcnt(2)
	v_add_f32_e32 v14, v4, v14
	v_cndmask_b32_e64 v4, -v7, v7, s[2:3]
	s_waitcnt lgkmcnt(1)
	v_add_f32_e32 v9, v9, v15
	ds_bpermute_b32 v7, v3, v11
	s_waitcnt lgkmcnt(1)
	v_add_f32_e32 v15, v4, v6
	ds_bpermute_b32 v4, v3, v8
	ds_bpermute_b32 v3, v3, v2
	v_cndmask_b32_e64 v2, -v2, v2, s[2:3]
	v_cndmask_b32_e64 v6, -v11, v11, s[2:3]
	s_waitcnt lgkmcnt(2)
	v_add_f32_e32 v16, v6, v7
	v_cndmask_b32_e64 v6, -v8, v8, s[2:3]
	s_waitcnt lgkmcnt(0)
	v_add_f32_e32 v19, v2, v3
	v_xor_b32_e32 v2, 8, v1
	v_cmp_lt_i32_e64 s[2:3], v2, v21
	v_cndmask_b32_e64 v2, v1, v2, s[2:3]
	v_and_b32_e32 v3, 8, v0
	v_lshlrev_b32_e32 v20, 2, v2
	ds_bpermute_b32 v2, v20, v5
	v_cmp_eq_u32_e64 s[2:3], 0, v3
	ds_bpermute_b32 v3, v20, v9
	v_add_f32_e32 v17, v6, v4
	ds_bpermute_b32 v6, v20, v10
	v_cndmask_b32_e64 v8, -v10, v10, s[2:3]
	ds_bpermute_b32 v10, v20, v15
	ds_bpermute_b32 v11, v20, v16
	v_cndmask_b32_e64 v4, -v5, v5, s[2:3]
	v_cndmask_b32_e64 v5, -v9, v9, s[2:3]
	ds_bpermute_b32 v7, v20, v14
	v_cndmask_b32_e64 v9, -v14, v14, s[2:3]
	v_cndmask_b32_e64 v14, -v15, v15, s[2:3]
	;; [unrolled: 1-line block ×3, first 2 shown]
	ds_bpermute_b32 v16, v20, v17
	v_cndmask_b32_e64 v18, -v17, v17, s[2:3]
	ds_bpermute_b32 v17, v20, v19
	v_and_b32_e32 v20, 16, v0
	v_xor_b32_e32 v0, 16, v1
	v_cndmask_b32_e64 v19, -v19, v19, s[2:3]
	v_cmp_lt_i32_e64 s[2:3], v0, v21
	v_cndmask_b32_e64 v0, v1, v0, s[2:3]
	v_lshlrev_b32_e32 v21, 2, v0
	s_waitcnt lgkmcnt(6)
	v_pk_add_f32 v[0:1], v[4:5], v[2:3]
	s_waitcnt lgkmcnt(3)
	v_pk_add_f32 v[2:3], v[14:15], v[10:11]
	ds_bpermute_b32 v4, v21, v0
	ds_bpermute_b32 v5, v21, v1
	;; [unrolled: 1-line block ×4, first 2 shown]
	v_cmp_eq_u32_e64 s[2:3], 0, v20
	v_cndmask_b32_e64 v1, -v1, v1, s[2:3]
	v_cndmask_b32_e64 v0, -v0, v0, s[2:3]
	s_waitcnt lgkmcnt(2)
	v_pk_add_f32 v[0:1], v[0:1], v[4:5]
	v_cndmask_b32_e64 v3, -v3, v3, s[2:3]
	v_cndmask_b32_e64 v2, -v2, v2, s[2:3]
	v_pk_add_f32 v[4:5], v[8:9], v[6:7]
	v_pk_add_f32 v[6:7], v[18:19], v[16:17]
	s_waitcnt lgkmcnt(0)
	v_pk_add_f32 v[2:3], v[2:3], v[10:11]
	ds_bpermute_b32 v8, v21, v4
	ds_bpermute_b32 v9, v21, v5
	v_cndmask_b32_e64 v5, -v5, v5, s[2:3]
	ds_bpermute_b32 v10, v21, v6
	ds_bpermute_b32 v11, v21, v7
	v_cndmask_b32_e64 v4, -v4, v4, s[2:3]
	v_cndmask_b32_e64 v7, -v7, v7, s[2:3]
	;; [unrolled: 1-line block ×3, first 2 shown]
	s_mul_i32 s2, s14, s7
	s_mul_hi_u32 s3, s14, s6
	s_add_i32 s2, s3, s2
	s_mul_i32 s3, s15, s6
	s_add_i32 s3, s2, s3
	s_mul_i32 s2, s14, s6
	s_lshl_b64 s[2:3], s[2:3], 2
	s_add_u32 s2, s10, s2
	s_waitcnt lgkmcnt(2)
	v_pk_add_f32 v[4:5], v[4:5], v[8:9]
	s_waitcnt lgkmcnt(0)
	v_pk_add_f32 v[6:7], v[6:7], v[10:11]
	s_addc_u32 s3, s11, s3
	s_mov_b32 s17, s16
	s_and_saveexec_b64 s[4:5], vcc
	s_cbranch_execnz .LBB5_7
; %bb.5:
	s_or_b64 exec, exec, s[4:5]
	s_and_saveexec_b64 s[4:5], s[0:1]
	s_cbranch_execnz .LBB5_8
.LBB5_6:
	s_endpgm
.LBB5_7:
	v_pk_add_f32 v[8:9], v[0:1], v[2:3]
	v_pk_add_f32 v[10:11], v[4:5], v[6:7]
	v_pk_mul_f32 v[8:9], s[16:17], v[8:9]
	v_pk_mul_f32 v[10:11], s[16:17], v[10:11]
	global_store_dwordx4 v12, v[8:11], s[2:3]
	s_or_b64 exec, exec, s[4:5]
	s_and_saveexec_b64 s[4:5], s[0:1]
	s_cbranch_execz .LBB5_6
.LBB5_8:
	v_pk_add_f32 v[0:1], v[0:1], v[2:3] neg_lo:[0,1] neg_hi:[0,1]
	v_pk_add_f32 v[2:3], v[4:5], v[6:7] neg_lo:[0,1] neg_hi:[0,1]
	v_pk_mul_f32 v[0:1], s[16:17], v[0:1]
	v_pk_mul_f32 v[2:3], s[16:17], v[2:3]
	global_store_dwordx4 v13, v[0:3], s[2:3]
	s_endpgm
	.section	.rodata,"a",@progbits
	.p2align	6, 0x0
	.amdhsa_kernel _Z30fast_hadamard_transform_kernelI37fast_hadamard_transform_kernel_traitsILi32ELi8EfEEv18HadamardParamsBase
		.amdhsa_group_segment_fixed_size 0
		.amdhsa_private_segment_fixed_size 0
		.amdhsa_kernarg_size 312
		.amdhsa_user_sgpr_count 6
		.amdhsa_user_sgpr_private_segment_buffer 1
		.amdhsa_user_sgpr_dispatch_ptr 0
		.amdhsa_user_sgpr_queue_ptr 0
		.amdhsa_user_sgpr_kernarg_segment_ptr 1
		.amdhsa_user_sgpr_dispatch_id 0
		.amdhsa_user_sgpr_flat_scratch_init 0
		.amdhsa_user_sgpr_kernarg_preload_length 0
		.amdhsa_user_sgpr_kernarg_preload_offset 0
		.amdhsa_user_sgpr_private_segment_size 0
		.amdhsa_uses_dynamic_stack 0
		.amdhsa_system_sgpr_private_segment_wavefront_offset 0
		.amdhsa_system_sgpr_workgroup_id_x 1
		.amdhsa_system_sgpr_workgroup_id_y 0
		.amdhsa_system_sgpr_workgroup_id_z 0
		.amdhsa_system_sgpr_workgroup_info 0
		.amdhsa_system_vgpr_workitem_id 0
		.amdhsa_next_free_vgpr 22
		.amdhsa_next_free_sgpr 19
		.amdhsa_accum_offset 24
		.amdhsa_reserve_vcc 1
		.amdhsa_reserve_flat_scratch 0
		.amdhsa_float_round_mode_32 0
		.amdhsa_float_round_mode_16_64 0
		.amdhsa_float_denorm_mode_32 3
		.amdhsa_float_denorm_mode_16_64 3
		.amdhsa_dx10_clamp 1
		.amdhsa_ieee_mode 1
		.amdhsa_fp16_overflow 0
		.amdhsa_tg_split 0
		.amdhsa_exception_fp_ieee_invalid_op 0
		.amdhsa_exception_fp_denorm_src 0
		.amdhsa_exception_fp_ieee_div_zero 0
		.amdhsa_exception_fp_ieee_overflow 0
		.amdhsa_exception_fp_ieee_underflow 0
		.amdhsa_exception_fp_ieee_inexact 0
		.amdhsa_exception_int_div_zero 0
	.end_amdhsa_kernel
	.section	.text._Z30fast_hadamard_transform_kernelI37fast_hadamard_transform_kernel_traitsILi32ELi8EfEEv18HadamardParamsBase,"axG",@progbits,_Z30fast_hadamard_transform_kernelI37fast_hadamard_transform_kernel_traitsILi32ELi8EfEEv18HadamardParamsBase,comdat
.Lfunc_end5:
	.size	_Z30fast_hadamard_transform_kernelI37fast_hadamard_transform_kernel_traitsILi32ELi8EfEEv18HadamardParamsBase, .Lfunc_end5-_Z30fast_hadamard_transform_kernelI37fast_hadamard_transform_kernel_traitsILi32ELi8EfEEv18HadamardParamsBase
                                        ; -- End function
	.section	.AMDGPU.csdata,"",@progbits
; Kernel info:
; codeLenInByte = 1612
; NumSgprs: 23
; NumVgprs: 22
; NumAgprs: 0
; TotalNumVgprs: 22
; ScratchSize: 0
; MemoryBound: 0
; FloatMode: 240
; IeeeMode: 1
; LDSByteSize: 0 bytes/workgroup (compile time only)
; SGPRBlocks: 2
; VGPRBlocks: 2
; NumSGPRsForWavesPerEU: 23
; NumVGPRsForWavesPerEU: 22
; AccumOffset: 24
; Occupancy: 8
; WaveLimiterHint : 0
; COMPUTE_PGM_RSRC2:SCRATCH_EN: 0
; COMPUTE_PGM_RSRC2:USER_SGPR: 6
; COMPUTE_PGM_RSRC2:TRAP_HANDLER: 0
; COMPUTE_PGM_RSRC2:TGID_X_EN: 1
; COMPUTE_PGM_RSRC2:TGID_Y_EN: 0
; COMPUTE_PGM_RSRC2:TGID_Z_EN: 0
; COMPUTE_PGM_RSRC2:TIDIG_COMP_CNT: 0
; COMPUTE_PGM_RSRC3_GFX90A:ACCUM_OFFSET: 5
; COMPUTE_PGM_RSRC3_GFX90A:TG_SPLIT: 0
	.section	.text._Z30fast_hadamard_transform_kernelI37fast_hadamard_transform_kernel_traitsILi32ELi9EfEEv18HadamardParamsBase,"axG",@progbits,_Z30fast_hadamard_transform_kernelI37fast_hadamard_transform_kernel_traitsILi32ELi9EfEEv18HadamardParamsBase,comdat
	.protected	_Z30fast_hadamard_transform_kernelI37fast_hadamard_transform_kernel_traitsILi32ELi9EfEEv18HadamardParamsBase ; -- Begin function _Z30fast_hadamard_transform_kernelI37fast_hadamard_transform_kernel_traitsILi32ELi9EfEEv18HadamardParamsBase
	.globl	_Z30fast_hadamard_transform_kernelI37fast_hadamard_transform_kernel_traitsILi32ELi9EfEEv18HadamardParamsBase
	.p2align	8
	.type	_Z30fast_hadamard_transform_kernelI37fast_hadamard_transform_kernel_traitsILi32ELi9EfEEv18HadamardParamsBase,@function
_Z30fast_hadamard_transform_kernelI37fast_hadamard_transform_kernel_traitsILi32ELi9EfEEv18HadamardParamsBase: ; @_Z30fast_hadamard_transform_kernelI37fast_hadamard_transform_kernel_traitsILi32ELi9EfEEv18HadamardParamsBase
; %bb.0:
	s_load_dwordx4 s[8:11], s[4:5], 0x10
	s_load_dword s16, s[4:5], 0x4
	s_ashr_i32 s7, s6, 31
	s_load_dwordx4 s[12:15], s[4:5], 0x28
	s_load_dword s2, s[4:5], 0x44
	s_waitcnt lgkmcnt(0)
	s_mul_hi_u32 s0, s8, s6
	s_mul_i32 s1, s8, s7
	s_add_i32 s0, s0, s1
	s_mul_i32 s1, s9, s6
	s_add_i32 s1, s0, s1
	s_mul_i32 s0, s8, s6
	s_lshl_b64 s[0:1], s[0:1], 2
	s_add_u32 s8, s12, s0
	v_lshlrev_b32_e32 v1, 2, v0
	s_addc_u32 s9, s13, s1
	v_cmp_gt_u32_e32 vcc, s16, v1
	v_mov_b32_e32 v16, 0
	v_lshlrev_b32_e32 v24, 4, v0
	v_mov_b32_e32 v18, 0
	v_mov_b32_e32 v19, 0
	;; [unrolled: 1-line block ×4, first 2 shown]
	s_and_saveexec_b64 s[0:1], vcc
	s_cbranch_execz .LBB6_2
; %bb.1:
	global_load_dwordx4 v[2:5], v24, s[8:9]
	s_waitcnt vmcnt(0)
	v_mov_b32_e32 v18, v2
	v_mov_b32_e32 v19, v4
	;; [unrolled: 1-line block ×3, first 2 shown]
.LBB6_2:
	s_or_b64 exec, exec, s[0:1]
	s_and_b32 s17, 0xffff, s2
	v_add_u32_e32 v1, s17, v0
	v_lshlrev_b32_e32 v2, 2, v1
	v_cmp_gt_u32_e64 s[0:1], s16, v2
	v_lshlrev_b32_e32 v25, 4, v1
	v_mov_b32_e32 v17, 0
	v_mov_b32_e32 v8, 0
	v_mov_b32_e32 v9, 0
	s_and_saveexec_b64 s[2:3], s[0:1]
	s_cbranch_execz .LBB6_4
; %bb.3:
	global_load_dwordx4 v[6:9], v25, s[8:9]
	s_waitcnt vmcnt(0)
	v_mov_b32_e32 v16, v6
	v_mov_b32_e32 v17, v8
	;; [unrolled: 1-line block ×3, first 2 shown]
.LBB6_4:
	s_or_b64 exec, exec, s[2:3]
	s_load_dwordx2 s[12:13], s[4:5], 0x20
	v_add_u32_e32 v1, s17, v1
	v_lshlrev_b32_e32 v2, 2, v1
	v_cmp_gt_u32_e64 s[2:3], s16, v2
	v_mov_b32_e32 v10, 0
	v_lshlrev_b32_e32 v26, 4, v1
	v_mov_b32_e32 v2, 0
	v_mov_b32_e32 v3, 0
	;; [unrolled: 1-line block ×4, first 2 shown]
	s_and_saveexec_b64 s[4:5], s[2:3]
	s_cbranch_execz .LBB6_6
; %bb.5:
	global_load_dwordx4 v[12:15], v26, s[8:9]
	s_waitcnt vmcnt(0)
	v_mov_b32_e32 v2, v12
	v_mov_b32_e32 v3, v14
	;; [unrolled: 1-line block ×3, first 2 shown]
.LBB6_6:
	s_or_b64 exec, exec, s[4:5]
	v_add_u32_e32 v1, s17, v1
	v_lshlrev_b32_e32 v6, 2, v1
	v_cmp_gt_u32_e64 s[4:5], s16, v6
	v_lshlrev_b32_e32 v27, 4, v1
	v_mov_b32_e32 v6, 0
	v_mov_b32_e32 v11, 0
	;; [unrolled: 1-line block ×3, first 2 shown]
	s_and_saveexec_b64 s[16:17], s[4:5]
	s_cbranch_execz .LBB6_8
; %bb.7:
	global_load_dwordx4 v[10:13], v27, s[8:9]
	s_waitcnt vmcnt(0)
	v_mov_b32_e32 v6, v11
	v_mov_b32_e32 v11, v12
	;; [unrolled: 1-line block ×3, first 2 shown]
.LBB6_8:
	s_or_b64 exec, exec, s[16:17]
	v_pk_add_f32 v[12:13], v[18:19], v[4:5] neg_lo:[0,1] neg_hi:[0,1]
	v_pk_add_f32 v[4:5], v[18:19], v[4:5]
	v_pk_add_f32 v[20:21], v[16:17], v[8:9] neg_lo:[0,1] neg_hi:[0,1]
	v_pk_add_f32 v[22:23], v[2:3], v[14:15] neg_lo:[0,1] neg_hi:[0,1]
	v_pk_add_f32 v[8:9], v[16:17], v[8:9]
	v_pk_add_f32 v[2:3], v[2:3], v[14:15]
	v_pk_add_f32 v[14:15], v[10:11], v[6:7]
	v_pk_add_f32 v[6:7], v[10:11], v[6:7] neg_lo:[0,1] neg_hi:[0,1]
	v_mov_b32_e32 v10, v5
	v_pk_add_f32 v[16:17], v[4:5], v[10:11]
	v_pk_add_f32 v[4:5], v[4:5], v[10:11] neg_lo:[0,1] neg_hi:[0,1]
	v_mov_b32_e32 v10, v9
	v_pk_add_f32 v[18:19], v[8:9], v[10:11]
	;; [unrolled: 3-line block ×6, first 2 shown]
	v_pk_add_f32 v[14:15], v[20:21], v[14:15] neg_lo:[0,1] neg_hi:[0,1]
	v_mov_b32_e32 v20, v23
	v_mbcnt_lo_u32_b32 v1, -1, 0
	v_pk_add_f32 v[36:37], v[22:23], v[20:21]
	v_pk_add_f32 v[20:21], v[22:23], v[20:21] neg_lo:[0,1] neg_hi:[0,1]
	v_mov_b32_e32 v22, v7
	v_mbcnt_hi_u32_b32 v1, -1, v1
	v_pk_add_f32 v[38:39], v[6:7], v[22:23]
	v_and_b32_e32 v3, 64, v1
	v_add_u32_e32 v39, 64, v3
	v_xor_b32_e32 v3, 1, v1
	v_cmp_lt_i32_e64 s[8:9], v3, v39
	v_cndmask_b32_e64 v3, v1, v3, s[8:9]
	v_lshlrev_b32_e32 v3, 2, v3
	ds_bpermute_b32 v5, v3, v16
	v_pk_add_f32 v[6:7], v[6:7], v[22:23] neg_lo:[0,1] neg_hi:[0,1]
	v_and_b32_e32 v7, 1, v0
	v_cmp_eq_u32_e64 s[8:9], 0, v7
	ds_bpermute_b32 v9, v3, v32
	v_cndmask_b32_e64 v7, -v16, v16, s[8:9]
	s_waitcnt lgkmcnt(0)
	v_add_f32_e32 v5, v7, v5
	ds_bpermute_b32 v7, v3, v4
	v_cndmask_b32_e64 v11, -v32, v32, s[8:9]
	v_add_f32_e32 v9, v11, v9
	ds_bpermute_b32 v11, v3, v12
	v_cndmask_b32_e64 v4, -v4, v4, s[8:9]
	s_waitcnt lgkmcnt(1)
	v_add_f32_e32 v4, v4, v7
	ds_bpermute_b32 v7, v3, v18
	v_cndmask_b32_e64 v12, -v12, v12, s[8:9]
	s_waitcnt lgkmcnt(1)
	;; [unrolled: 4-line block ×10, first 2 shown]
	v_add_f32_e32 v17, v18, v17
	v_cndmask_b32_e64 v18, -v30, v30, s[8:9]
	ds_bpermute_b32 v19, v3, v38
	s_waitcnt lgkmcnt(1)
	v_add_f32_e32 v16, v18, v16
	ds_bpermute_b32 v18, v3, v10
	ds_bpermute_b32 v3, v3, v6
	v_cndmask_b32_e64 v6, -v6, v6, s[8:9]
	v_cndmask_b32_e64 v20, -v38, v38, s[8:9]
	;; [unrolled: 1-line block ×3, first 2 shown]
	s_waitcnt lgkmcnt(1)
	v_add_f32_e32 v10, v10, v18
	s_waitcnt lgkmcnt(0)
	v_add_f32_e32 v3, v6, v3
	v_xor_b32_e32 v6, 2, v1
	v_cmp_lt_i32_e64 s[8:9], v6, v39
	v_cndmask_b32_e64 v6, v1, v6, s[8:9]
	v_lshlrev_b32_e32 v6, 2, v6
	ds_bpermute_b32 v18, v6, v5
	v_add_f32_e32 v19, v20, v19
	v_and_b32_e32 v20, 2, v0
	v_cmp_eq_u32_e64 s[8:9], 0, v20
	v_cndmask_b32_e64 v5, -v5, v5, s[8:9]
	s_waitcnt lgkmcnt(0)
	v_add_f32_e32 v5, v5, v18
	ds_bpermute_b32 v18, v6, v4
	v_cndmask_b32_e64 v4, -v4, v4, s[8:9]
	ds_bpermute_b32 v20, v6, v11
	v_cndmask_b32_e64 v11, -v11, v11, s[8:9]
	ds_bpermute_b32 v21, v6, v9
	s_waitcnt lgkmcnt(2)
	v_add_f32_e32 v4, v4, v18
	ds_bpermute_b32 v18, v6, v7
	v_cndmask_b32_e64 v7, -v7, v7, s[8:9]
	s_waitcnt lgkmcnt(2)
	v_add_f32_e32 v11, v11, v20
	ds_bpermute_b32 v20, v6, v12
	v_cndmask_b32_e64 v12, -v12, v12, s[8:9]
	;; [unrolled: 4-line block ×10, first 2 shown]
	s_waitcnt lgkmcnt(1)
	v_add_f32_e32 v16, v16, v18
	ds_bpermute_b32 v18, v6, v10
	ds_bpermute_b32 v6, v6, v3
	v_cndmask_b32_e64 v3, -v3, v3, s[8:9]
	v_cndmask_b32_e64 v19, -v19, v19, s[8:9]
	;; [unrolled: 1-line block ×3, first 2 shown]
	s_waitcnt lgkmcnt(1)
	v_add_f32_e32 v10, v10, v18
	s_waitcnt lgkmcnt(0)
	v_add_f32_e32 v3, v3, v6
	v_xor_b32_e32 v6, 4, v1
	v_cmp_lt_i32_e64 s[8:9], v6, v39
	v_cndmask_b32_e64 v6, v1, v6, s[8:9]
	v_lshlrev_b32_e32 v6, 2, v6
	ds_bpermute_b32 v18, v6, v5
	v_add_f32_e32 v19, v19, v20
	v_and_b32_e32 v20, 4, v0
	v_cmp_eq_u32_e64 s[8:9], 0, v20
	v_cndmask_b32_e64 v5, -v5, v5, s[8:9]
	s_waitcnt lgkmcnt(0)
	v_add_f32_e32 v5, v5, v18
	ds_bpermute_b32 v18, v6, v4
	ds_bpermute_b32 v20, v6, v11
	v_cndmask_b32_e64 v4, -v4, v4, s[8:9]
	v_cndmask_b32_e64 v11, -v11, v11, s[8:9]
	v_add_f32_e32 v9, v9, v21
	s_waitcnt lgkmcnt(1)
	v_add_f32_e32 v18, v4, v18
	ds_bpermute_b32 v4, v6, v7
	s_waitcnt lgkmcnt(1)
	v_add_f32_e32 v11, v11, v20
	ds_bpermute_b32 v20, v6, v12
	v_cndmask_b32_e64 v7, -v7, v7, s[8:9]
	ds_bpermute_b32 v21, v6, v9
	s_waitcnt lgkmcnt(2)
	v_add_f32_e32 v7, v7, v4
	ds_bpermute_b32 v4, v6, v8
	v_cndmask_b32_e64 v12, -v12, v12, s[8:9]
	v_cndmask_b32_e64 v9, -v9, v9, s[8:9]
	s_waitcnt lgkmcnt(2)
	v_add_f32_e32 v20, v12, v20
	ds_bpermute_b32 v12, v6, v14
	v_cndmask_b32_e64 v8, -v8, v8, s[8:9]
	s_waitcnt lgkmcnt(2)
	v_add_f32_e32 v9, v9, v21
	s_waitcnt lgkmcnt(1)
	v_add_f32_e32 v21, v8, v4
	ds_bpermute_b32 v4, v6, v13
	v_cndmask_b32_e64 v8, -v14, v14, s[8:9]
	s_waitcnt lgkmcnt(1)
	v_add_f32_e32 v22, v8, v12
	ds_bpermute_b32 v8, v6, v15
	v_cndmask_b32_e64 v12, -v13, v13, s[8:9]
	;; [unrolled: 4-line block ×5, first 2 shown]
	s_waitcnt lgkmcnt(1)
	v_add_f32_e32 v30, v4, v8
	v_cndmask_b32_e64 v4, -v16, v16, s[8:9]
	ds_bpermute_b32 v8, v6, v19
	s_waitcnt lgkmcnt(1)
	v_add_f32_e32 v31, v4, v2
	ds_bpermute_b32 v2, v6, v10
	ds_bpermute_b32 v6, v6, v3
	v_cndmask_b32_e64 v4, -v19, v19, s[8:9]
	s_waitcnt lgkmcnt(2)
	v_add_f32_e32 v33, v4, v8
	v_cndmask_b32_e64 v4, -v10, v10, s[8:9]
	s_waitcnt lgkmcnt(1)
	v_add_f32_e32 v35, v4, v2
	v_cndmask_b32_e64 v2, -v3, v3, s[8:9]
	s_waitcnt lgkmcnt(0)
	v_add_f32_e32 v37, v2, v6
	v_xor_b32_e32 v2, 8, v1
	v_cmp_lt_i32_e64 s[8:9], v2, v39
	v_cndmask_b32_e64 v2, v1, v2, s[8:9]
	v_and_b32_e32 v3, 8, v0
	v_lshlrev_b32_e32 v38, 2, v2
	ds_bpermute_b32 v2, v38, v5
	v_cmp_eq_u32_e64 s[8:9], 0, v3
	ds_bpermute_b32 v3, v38, v9
	ds_bpermute_b32 v6, v38, v7
	v_cndmask_b32_e64 v8, -v7, v7, s[8:9]
	ds_bpermute_b32 v7, v38, v20
	v_cndmask_b32_e64 v4, -v5, v5, s[8:9]
	v_cndmask_b32_e64 v5, -v9, v9, s[8:9]
	ds_bpermute_b32 v12, v38, v18
	v_cndmask_b32_e64 v14, -v18, v18, s[8:9]
	ds_bpermute_b32 v13, v38, v11
	v_cndmask_b32_e64 v15, -v11, v11, s[8:9]
	v_cndmask_b32_e64 v9, -v20, v20, s[8:9]
	ds_bpermute_b32 v16, v38, v21
	v_cndmask_b32_e64 v18, -v21, v21, s[8:9]
	ds_bpermute_b32 v17, v38, v22
	;; [unrolled: 2-line block ×8, first 2 shown]
	ds_bpermute_b32 v34, v38, v35
	v_cndmask_b32_e64 v36, -v35, v35, s[8:9]
	ds_bpermute_b32 v35, v38, v37
	v_and_b32_e32 v38, 16, v0
	v_xor_b32_e32 v0, 16, v1
	v_cndmask_b32_e64 v33, -v33, v33, s[8:9]
	v_cndmask_b32_e64 v37, -v37, v37, s[8:9]
	v_cmp_lt_i32_e64 s[8:9], v0, v39
	v_cndmask_b32_e64 v0, v1, v0, s[8:9]
	v_lshlrev_b32_e32 v39, 2, v0
	s_waitcnt lgkmcnt(14)
	v_pk_add_f32 v[0:1], v[4:5], v[2:3]
	s_waitcnt lgkmcnt(12)
	v_pk_add_f32 v[2:3], v[8:9], v[6:7]
	ds_bpermute_b32 v4, v39, v0
	ds_bpermute_b32 v5, v39, v1
	;; [unrolled: 1-line block ×4, first 2 shown]
	v_cmp_eq_u32_e64 s[8:9], 0, v38
	v_cndmask_b32_e64 v1, -v1, v1, s[8:9]
	v_cndmask_b32_e64 v0, -v0, v0, s[8:9]
	s_waitcnt lgkmcnt(10)
	v_pk_add_f32 v[8:9], v[20:21], v[10:11]
	s_waitcnt lgkmcnt(2)
	v_pk_add_f32 v[4:5], v[0:1], v[4:5]
	v_cndmask_b32_e64 v1, -v3, v3, s[8:9]
	v_cndmask_b32_e64 v0, -v2, v2, s[8:9]
	v_pk_add_f32 v[10:11], v[32:33], v[30:31]
	s_waitcnt lgkmcnt(0)
	v_pk_add_f32 v[6:7], v[0:1], v[6:7]
	ds_bpermute_b32 v0, v39, v8
	ds_bpermute_b32 v1, v39, v9
	v_pk_add_f32 v[12:13], v[14:15], v[12:13]
	ds_bpermute_b32 v20, v39, v10
	ds_bpermute_b32 v21, v39, v11
	;; [unrolled: 3-line block ×3, first 2 shown]
	ds_bpermute_b32 v18, v39, v14
	ds_bpermute_b32 v19, v39, v15
	v_cndmask_b32_e64 v3, -v9, v9, s[8:9]
	v_cndmask_b32_e64 v2, -v8, v8, s[8:9]
	s_waitcnt lgkmcnt(6)
	v_pk_add_f32 v[8:9], v[2:3], v[0:1]
	v_cndmask_b32_e64 v1, -v11, v11, s[8:9]
	v_cndmask_b32_e64 v0, -v10, v10, s[8:9]
	;; [unrolled: 1-line block ×4, first 2 shown]
	s_waitcnt lgkmcnt(4)
	v_pk_add_f32 v[10:11], v[0:1], v[20:21]
	v_pk_add_f32 v[20:21], v[28:29], v[22:23]
	s_waitcnt lgkmcnt(2)
	v_pk_add_f32 v[16:17], v[12:13], v[16:17]
	v_cndmask_b32_e64 v13, -v15, v15, s[8:9]
	v_cndmask_b32_e64 v12, -v14, v14, s[8:9]
	s_waitcnt lgkmcnt(0)
	v_pk_add_f32 v[18:19], v[12:13], v[18:19]
	ds_bpermute_b32 v12, v39, v20
	ds_bpermute_b32 v13, v39, v21
	v_pk_add_f32 v[22:23], v[36:37], v[34:35]
	v_cndmask_b32_e64 v15, -v21, v21, s[8:9]
	ds_bpermute_b32 v28, v39, v22
	ds_bpermute_b32 v29, v39, v23
	v_cndmask_b32_e64 v14, -v20, v20, s[8:9]
	s_waitcnt lgkmcnt(2)
	v_pk_add_f32 v[20:21], v[14:15], v[12:13]
	v_cndmask_b32_e64 v13, -v23, v23, s[8:9]
	v_cndmask_b32_e64 v12, -v22, v22, s[8:9]
	s_mul_i32 s7, s10, s7
	s_mul_hi_u32 s8, s10, s6
	s_add_i32 s7, s8, s7
	s_mul_i32 s8, s11, s6
	s_add_i32 s7, s7, s8
	s_mul_i32 s6, s10, s6
	s_lshl_b64 s[6:7], s[6:7], 2
	s_waitcnt lgkmcnt(0)
	v_pk_add_f32 v[22:23], v[12:13], v[28:29]
	s_add_u32 s6, s14, s6
	v_pk_add_f32 v[0:1], v[4:5], v[6:7]
	v_pk_add_f32 v[2:3], v[8:9], v[10:11]
	;; [unrolled: 1-line block ×4, first 2 shown]
	s_addc_u32 s7, s15, s7
	s_mov_b32 s13, s12
	s_and_saveexec_b64 s[8:9], vcc
	s_cbranch_execz .LBB6_10
; %bb.9:
	v_pk_add_f32 v[28:29], v[0:1], v[2:3]
	v_pk_add_f32 v[30:31], v[12:13], v[14:15]
	v_pk_mul_f32 v[28:29], s[12:13], v[28:29]
	v_pk_mul_f32 v[30:31], s[12:13], v[30:31]
	global_store_dwordx4 v24, v[28:31], s[6:7]
.LBB6_10:
	s_or_b64 exec, exec, s[8:9]
	v_pk_add_f32 v[4:5], v[4:5], v[6:7] neg_lo:[0,1] neg_hi:[0,1]
	v_pk_add_f32 v[6:7], v[8:9], v[10:11] neg_lo:[0,1] neg_hi:[0,1]
	;; [unrolled: 1-line block ×4, first 2 shown]
	s_and_saveexec_b64 s[8:9], s[0:1]
	s_cbranch_execnz .LBB6_14
; %bb.11:
	s_or_b64 exec, exec, s[8:9]
	s_and_saveexec_b64 s[0:1], s[2:3]
	s_cbranch_execnz .LBB6_15
.LBB6_12:
	s_or_b64 exec, exec, s[0:1]
	s_and_saveexec_b64 s[0:1], s[4:5]
	s_cbranch_execnz .LBB6_16
.LBB6_13:
	s_endpgm
.LBB6_14:
	v_pk_add_f32 v[16:17], v[4:5], v[6:7]
	v_pk_add_f32 v[18:19], v[8:9], v[10:11]
	v_pk_mul_f32 v[16:17], s[12:13], v[16:17]
	v_pk_mul_f32 v[18:19], s[12:13], v[18:19]
	global_store_dwordx4 v25, v[16:19], s[6:7]
	s_or_b64 exec, exec, s[8:9]
	s_and_saveexec_b64 s[0:1], s[2:3]
	s_cbranch_execz .LBB6_12
.LBB6_15:
	v_pk_add_f32 v[0:1], v[0:1], v[2:3] neg_lo:[0,1] neg_hi:[0,1]
	v_pk_add_f32 v[2:3], v[12:13], v[14:15] neg_lo:[0,1] neg_hi:[0,1]
	v_pk_mul_f32 v[0:1], s[12:13], v[0:1]
	v_pk_mul_f32 v[2:3], s[12:13], v[2:3]
	global_store_dwordx4 v26, v[0:3], s[6:7]
	s_or_b64 exec, exec, s[0:1]
	s_and_saveexec_b64 s[0:1], s[4:5]
	s_cbranch_execz .LBB6_13
.LBB6_16:
	v_pk_add_f32 v[0:1], v[4:5], v[6:7] neg_lo:[0,1] neg_hi:[0,1]
	v_pk_add_f32 v[2:3], v[8:9], v[10:11] neg_lo:[0,1] neg_hi:[0,1]
	v_pk_mul_f32 v[0:1], s[12:13], v[0:1]
	v_pk_mul_f32 v[2:3], s[12:13], v[2:3]
	global_store_dwordx4 v27, v[0:3], s[6:7]
	s_endpgm
	.section	.rodata,"a",@progbits
	.p2align	6, 0x0
	.amdhsa_kernel _Z30fast_hadamard_transform_kernelI37fast_hadamard_transform_kernel_traitsILi32ELi9EfEEv18HadamardParamsBase
		.amdhsa_group_segment_fixed_size 0
		.amdhsa_private_segment_fixed_size 0
		.amdhsa_kernarg_size 312
		.amdhsa_user_sgpr_count 6
		.amdhsa_user_sgpr_private_segment_buffer 1
		.amdhsa_user_sgpr_dispatch_ptr 0
		.amdhsa_user_sgpr_queue_ptr 0
		.amdhsa_user_sgpr_kernarg_segment_ptr 1
		.amdhsa_user_sgpr_dispatch_id 0
		.amdhsa_user_sgpr_flat_scratch_init 0
		.amdhsa_user_sgpr_kernarg_preload_length 0
		.amdhsa_user_sgpr_kernarg_preload_offset 0
		.amdhsa_user_sgpr_private_segment_size 0
		.amdhsa_uses_dynamic_stack 0
		.amdhsa_system_sgpr_private_segment_wavefront_offset 0
		.amdhsa_system_sgpr_workgroup_id_x 1
		.amdhsa_system_sgpr_workgroup_id_y 0
		.amdhsa_system_sgpr_workgroup_id_z 0
		.amdhsa_system_sgpr_workgroup_info 0
		.amdhsa_system_vgpr_workitem_id 0
		.amdhsa_next_free_vgpr 40
		.amdhsa_next_free_sgpr 18
		.amdhsa_accum_offset 40
		.amdhsa_reserve_vcc 1
		.amdhsa_reserve_flat_scratch 0
		.amdhsa_float_round_mode_32 0
		.amdhsa_float_round_mode_16_64 0
		.amdhsa_float_denorm_mode_32 3
		.amdhsa_float_denorm_mode_16_64 3
		.amdhsa_dx10_clamp 1
		.amdhsa_ieee_mode 1
		.amdhsa_fp16_overflow 0
		.amdhsa_tg_split 0
		.amdhsa_exception_fp_ieee_invalid_op 0
		.amdhsa_exception_fp_denorm_src 0
		.amdhsa_exception_fp_ieee_div_zero 0
		.amdhsa_exception_fp_ieee_overflow 0
		.amdhsa_exception_fp_ieee_underflow 0
		.amdhsa_exception_fp_ieee_inexact 0
		.amdhsa_exception_int_div_zero 0
	.end_amdhsa_kernel
	.section	.text._Z30fast_hadamard_transform_kernelI37fast_hadamard_transform_kernel_traitsILi32ELi9EfEEv18HadamardParamsBase,"axG",@progbits,_Z30fast_hadamard_transform_kernelI37fast_hadamard_transform_kernel_traitsILi32ELi9EfEEv18HadamardParamsBase,comdat
.Lfunc_end6:
	.size	_Z30fast_hadamard_transform_kernelI37fast_hadamard_transform_kernel_traitsILi32ELi9EfEEv18HadamardParamsBase, .Lfunc_end6-_Z30fast_hadamard_transform_kernelI37fast_hadamard_transform_kernel_traitsILi32ELi9EfEEv18HadamardParamsBase
                                        ; -- End function
	.section	.AMDGPU.csdata,"",@progbits
; Kernel info:
; codeLenInByte = 2960
; NumSgprs: 22
; NumVgprs: 40
; NumAgprs: 0
; TotalNumVgprs: 40
; ScratchSize: 0
; MemoryBound: 0
; FloatMode: 240
; IeeeMode: 1
; LDSByteSize: 0 bytes/workgroup (compile time only)
; SGPRBlocks: 2
; VGPRBlocks: 4
; NumSGPRsForWavesPerEU: 22
; NumVGPRsForWavesPerEU: 40
; AccumOffset: 40
; Occupancy: 8
; WaveLimiterHint : 0
; COMPUTE_PGM_RSRC2:SCRATCH_EN: 0
; COMPUTE_PGM_RSRC2:USER_SGPR: 6
; COMPUTE_PGM_RSRC2:TRAP_HANDLER: 0
; COMPUTE_PGM_RSRC2:TGID_X_EN: 1
; COMPUTE_PGM_RSRC2:TGID_Y_EN: 0
; COMPUTE_PGM_RSRC2:TGID_Z_EN: 0
; COMPUTE_PGM_RSRC2:TIDIG_COMP_CNT: 0
; COMPUTE_PGM_RSRC3_GFX90A:ACCUM_OFFSET: 9
; COMPUTE_PGM_RSRC3_GFX90A:TG_SPLIT: 0
	.section	.text._Z30fast_hadamard_transform_kernelI37fast_hadamard_transform_kernel_traitsILi128ELi10EfEEv18HadamardParamsBase,"axG",@progbits,_Z30fast_hadamard_transform_kernelI37fast_hadamard_transform_kernel_traitsILi128ELi10EfEEv18HadamardParamsBase,comdat
	.protected	_Z30fast_hadamard_transform_kernelI37fast_hadamard_transform_kernel_traitsILi128ELi10EfEEv18HadamardParamsBase ; -- Begin function _Z30fast_hadamard_transform_kernelI37fast_hadamard_transform_kernel_traitsILi128ELi10EfEEv18HadamardParamsBase
	.globl	_Z30fast_hadamard_transform_kernelI37fast_hadamard_transform_kernel_traitsILi128ELi10EfEEv18HadamardParamsBase
	.p2align	8
	.type	_Z30fast_hadamard_transform_kernelI37fast_hadamard_transform_kernel_traitsILi128ELi10EfEEv18HadamardParamsBase,@function
_Z30fast_hadamard_transform_kernelI37fast_hadamard_transform_kernel_traitsILi128ELi10EfEEv18HadamardParamsBase: ; @_Z30fast_hadamard_transform_kernelI37fast_hadamard_transform_kernel_traitsILi128ELi10EfEEv18HadamardParamsBase
; %bb.0:
	s_load_dwordx4 s[12:15], s[4:5], 0x10
	s_load_dword s18, s[4:5], 0x4
	s_load_dwordx2 s[16:17], s[4:5], 0x20
	s_load_dwordx4 s[8:11], s[4:5], 0x28
	s_ashr_i32 s7, s6, 31
	s_waitcnt lgkmcnt(0)
	s_mul_hi_u32 s0, s12, s6
	s_mul_i32 s1, s12, s7
	s_add_i32 s0, s0, s1
	s_mul_i32 s1, s13, s6
	s_load_dword s4, s[4:5], 0x44
	s_add_i32 s1, s0, s1
	s_mul_i32 s0, s12, s6
	s_lshl_b64 s[0:1], s[0:1], 2
	s_add_u32 s2, s8, s0
	v_lshlrev_b32_e32 v1, 2, v0
	s_addc_u32 s3, s9, s1
	v_cmp_gt_u32_e32 vcc, s18, v1
	v_mov_b32_e32 v2, 0
	v_lshlrev_b32_e32 v12, 4, v0
	v_mov_b32_e32 v8, 0
	v_mov_b32_e32 v9, 0
	;; [unrolled: 1-line block ×4, first 2 shown]
	s_and_saveexec_b64 s[0:1], vcc
	s_cbranch_execz .LBB7_2
; %bb.1:
	global_load_dwordx4 v[4:7], v12, s[2:3]
	s_waitcnt vmcnt(0)
	v_mov_b32_e32 v8, v4
	v_mov_b32_e32 v9, v6
	;; [unrolled: 1-line block ×3, first 2 shown]
.LBB7_2:
	s_or_b64 exec, exec, s[0:1]
	s_waitcnt lgkmcnt(0)
	s_and_b32 s0, 0xffff, s4
	v_add_u32_e32 v1, s0, v0
	v_lshlrev_b32_e32 v3, 2, v1
	v_cmp_gt_u32_e64 s[0:1], s18, v3
	v_lshlrev_b32_e32 v13, 4, v1
	v_mov_b32_e32 v10, 0
	v_mov_b32_e32 v3, 0
	;; [unrolled: 1-line block ×3, first 2 shown]
	s_and_saveexec_b64 s[4:5], s[0:1]
	s_cbranch_execz .LBB7_4
; %bb.3:
	global_load_dwordx4 v[2:5], v13, s[2:3]
	s_waitcnt vmcnt(0)
	v_mov_b32_e32 v10, v3
	v_mov_b32_e32 v3, v4
	;; [unrolled: 1-line block ×3, first 2 shown]
.LBB7_4:
	s_or_b64 exec, exec, s[4:5]
	v_pk_add_f32 v[4:5], v[8:9], v[6:7] neg_lo:[0,1] neg_hi:[0,1]
	v_pk_add_f32 v[6:7], v[8:9], v[6:7]
	v_pk_add_f32 v[8:9], v[2:3], v[10:11]
	v_pk_add_f32 v[2:3], v[2:3], v[10:11] neg_lo:[0,1] neg_hi:[0,1]
	v_mov_b32_e32 v10, v7
	v_pk_add_f32 v[14:15], v[6:7], v[10:11]
	v_pk_add_f32 v[6:7], v[6:7], v[10:11] neg_lo:[0,1] neg_hi:[0,1]
	v_mov_b32_e32 v10, v9
	;; [unrolled: 3-line block ×4, first 2 shown]
	v_mbcnt_lo_u32_b32 v1, -1, 0
	v_pk_add_f32 v[20:21], v[2:3], v[10:11]
	v_pk_add_f32 v[2:3], v[2:3], v[10:11] neg_lo:[0,1] neg_hi:[0,1]
	v_mbcnt_hi_u32_b32 v1, -1, v1
	v_and_b32_e32 v3, 64, v1
	v_add_u32_e32 v21, 64, v3
	v_xor_b32_e32 v3, 1, v1
	v_cmp_lt_i32_e64 s[2:3], v3, v21
	v_cndmask_b32_e64 v3, v1, v3, s[2:3]
	v_lshlrev_b32_e32 v22, 2, v3
	ds_bpermute_b32 v3, v22, v14
	v_and_b32_e32 v23, 1, v0
	v_cmp_eq_u32_e64 s[2:3], 0, v23
	ds_bpermute_b32 v5, v22, v18
	v_cndmask_b32_e64 v7, -v14, v14, s[2:3]
	s_waitcnt lgkmcnt(1)
	v_add_f32_e32 v3, v7, v3
	ds_bpermute_b32 v7, v22, v6
	v_cndmask_b32_e64 v9, -v18, v18, s[2:3]
	s_waitcnt lgkmcnt(1)
	v_add_f32_e32 v5, v9, v5
	;; [unrolled: 4-line block ×4, first 2 shown]
	v_cndmask_b32_e64 v9, -v16, v16, s[2:3]
	ds_bpermute_b32 v10, v22, v20
	s_waitcnt lgkmcnt(1)
	v_add_f32_e32 v7, v9, v7
	ds_bpermute_b32 v9, v22, v8
	v_cndmask_b32_e64 v8, -v8, v8, s[2:3]
	ds_bpermute_b32 v14, v22, v2
	v_cndmask_b32_e64 v11, -v20, v20, s[2:3]
	s_waitcnt lgkmcnt(2)
	v_add_f32_e32 v10, v11, v10
	s_waitcnt lgkmcnt(1)
	v_add_f32_e32 v8, v8, v9
	v_xor_b32_e32 v9, 2, v1
	v_cmp_lt_i32_e64 s[4:5], v9, v21
	v_cndmask_b32_e64 v9, v1, v9, s[4:5]
	v_lshlrev_b32_e32 v9, 2, v9
	ds_bpermute_b32 v11, v9, v3
	v_cndmask_b32_e64 v2, -v2, v2, s[2:3]
	s_waitcnt lgkmcnt(1)
	v_add_f32_e32 v2, v2, v14
	v_and_b32_e32 v14, 2, v0
	v_cmp_eq_u32_e64 s[4:5], 0, v14
	v_cndmask_b32_e64 v3, -v3, v3, s[4:5]
	s_waitcnt lgkmcnt(0)
	v_add_f32_e32 v3, v3, v11
	ds_bpermute_b32 v11, v9, v6
	v_cndmask_b32_e64 v6, -v6, v6, s[4:5]
	ds_bpermute_b32 v14, v9, v4
	v_cndmask_b32_e64 v4, -v4, v4, s[4:5]
	ds_bpermute_b32 v15, v9, v5
	s_waitcnt lgkmcnt(2)
	v_add_f32_e32 v6, v6, v11
	ds_bpermute_b32 v11, v9, v7
	v_cndmask_b32_e64 v7, -v7, v7, s[4:5]
	s_waitcnt lgkmcnt(2)
	v_add_f32_e32 v4, v4, v14
	ds_bpermute_b32 v14, v9, v10
	v_cndmask_b32_e64 v5, -v5, v5, s[4:5]
	s_waitcnt lgkmcnt(1)
	v_add_f32_e32 v7, v7, v11
	ds_bpermute_b32 v11, v9, v8
	ds_bpermute_b32 v9, v9, v2
	v_cndmask_b32_e64 v2, -v2, v2, s[4:5]
	v_cndmask_b32_e64 v10, -v10, v10, s[4:5]
	;; [unrolled: 1-line block ×3, first 2 shown]
	s_waitcnt lgkmcnt(1)
	v_add_f32_e32 v8, v8, v11
	s_waitcnt lgkmcnt(0)
	v_add_f32_e32 v2, v2, v9
	v_xor_b32_e32 v9, 4, v1
	v_cmp_lt_i32_e64 s[4:5], v9, v21
	v_cndmask_b32_e64 v9, v1, v9, s[4:5]
	v_lshlrev_b32_e32 v9, 2, v9
	ds_bpermute_b32 v11, v9, v3
	v_add_f32_e32 v10, v10, v14
	v_and_b32_e32 v14, 4, v0
	v_cmp_eq_u32_e64 s[4:5], 0, v14
	v_cndmask_b32_e64 v3, -v3, v3, s[4:5]
	s_waitcnt lgkmcnt(0)
	v_add_f32_e32 v3, v3, v11
	ds_bpermute_b32 v11, v9, v6
	v_add_f32_e32 v5, v5, v15
	ds_bpermute_b32 v14, v9, v4
	v_cndmask_b32_e64 v6, -v6, v6, s[4:5]
	ds_bpermute_b32 v15, v9, v5
	s_waitcnt lgkmcnt(2)
	v_add_f32_e32 v11, v6, v11
	ds_bpermute_b32 v6, v9, v7
	v_cndmask_b32_e64 v4, -v4, v4, s[4:5]
	v_cndmask_b32_e64 v5, -v5, v5, s[4:5]
	s_waitcnt lgkmcnt(2)
	v_add_f32_e32 v14, v4, v14
	v_cndmask_b32_e64 v4, -v7, v7, s[4:5]
	s_waitcnt lgkmcnt(1)
	v_add_f32_e32 v5, v5, v15
	ds_bpermute_b32 v7, v9, v10
	s_waitcnt lgkmcnt(1)
	v_add_f32_e32 v15, v4, v6
	ds_bpermute_b32 v4, v9, v8
	ds_bpermute_b32 v9, v9, v2
	v_cndmask_b32_e64 v2, -v2, v2, s[4:5]
	v_cndmask_b32_e64 v6, -v10, v10, s[4:5]
	s_waitcnt lgkmcnt(2)
	v_add_f32_e32 v16, v6, v7
	v_cndmask_b32_e64 v6, -v8, v8, s[4:5]
	s_waitcnt lgkmcnt(0)
	v_add_f32_e32 v19, v2, v9
	v_xor_b32_e32 v2, 8, v1
	v_cmp_lt_i32_e64 s[4:5], v2, v21
	v_add_f32_e32 v17, v6, v4
	v_and_b32_e32 v4, 8, v0
	v_cndmask_b32_e64 v2, v1, v2, s[4:5]
	v_lshlrev_b32_e32 v20, 2, v2
	v_cmp_eq_u32_e64 s[4:5], 0, v4
	ds_bpermute_b32 v2, v20, v3
	v_cndmask_b32_e64 v4, -v3, v3, s[4:5]
	ds_bpermute_b32 v3, v20, v5
	v_xor_b32_e32 v24, 16, v1
	v_cndmask_b32_e64 v5, -v5, v5, s[4:5]
	ds_bpermute_b32 v6, v20, v11
	v_cndmask_b32_e64 v8, -v11, v11, s[4:5]
	ds_bpermute_b32 v7, v20, v14
	;; [unrolled: 2-line block ×6, first 2 shown]
	v_cndmask_b32_e64 v19, -v19, v19, s[4:5]
	v_cmp_lt_i32_e64 s[4:5], v24, v21
	v_cndmask_b32_e64 v24, v1, v24, s[4:5]
	v_lshlrev_b32_e32 v24, 2, v24
	s_waitcnt lgkmcnt(6)
	v_pk_add_f32 v[2:3], v[4:5], v[2:3]
	ds_bpermute_b32 v4, v24, v2
	ds_bpermute_b32 v5, v24, v3
	v_xor_b32_e32 v26, 32, v1
	v_and_b32_e32 v20, 16, v0
	v_cmp_lt_i32_e64 s[4:5], v26, v21
	v_cndmask_b32_e64 v1, v1, v26, s[4:5]
	v_cmp_eq_u32_e64 s[4:5], 0, v20
	v_cndmask_b32_e64 v3, -v3, v3, s[4:5]
	v_cndmask_b32_e64 v2, -v2, v2, s[4:5]
	v_lshlrev_b32_e32 v1, 2, v1
	s_waitcnt lgkmcnt(0)
	v_pk_add_f32 v[2:3], v[2:3], v[4:5]
	ds_bpermute_b32 v4, v1, v2
	ds_bpermute_b32 v5, v1, v3
	v_pk_add_f32 v[6:7], v[8:9], v[6:7]
	ds_bpermute_b32 v8, v24, v6
	ds_bpermute_b32 v9, v24, v7
	v_and_b32_e32 v25, 32, v0
	v_cmp_eq_u32_e64 s[8:9], 0, v25
	v_cndmask_b32_e64 v3, -v3, v3, s[8:9]
	v_cndmask_b32_e64 v2, -v2, v2, s[8:9]
	s_waitcnt lgkmcnt(2)
	v_pk_add_f32 v[2:3], v[2:3], v[4:5]
	v_cndmask_b32_e64 v5, -v7, v7, s[4:5]
	v_cndmask_b32_e64 v4, -v6, v6, s[4:5]
	s_waitcnt lgkmcnt(0)
	v_pk_add_f32 v[4:5], v[4:5], v[8:9]
	ds_bpermute_b32 v6, v1, v4
	ds_bpermute_b32 v7, v1, v5
	v_lshrrev_b32_e32 v21, 6, v0
	v_xor_b32_e32 v21, v21, v0
	v_cndmask_b32_e64 v5, -v5, v5, s[8:9]
	v_cndmask_b32_e64 v4, -v4, v4, s[8:9]
	v_pk_add_f32 v[8:9], v[14:15], v[10:11]
	v_lshl_add_u32 v21, v21, 4, 0
	ds_bpermute_b32 v10, v24, v8
	ds_bpermute_b32 v11, v24, v9
	s_waitcnt lgkmcnt(2)
	v_pk_add_f32 v[4:5], v[4:5], v[6:7]
	v_pk_add_f32 v[6:7], v[18:19], v[16:17]
	s_waitcnt lgkmcnt(0)
	s_barrier
	ds_write_b128 v21, v[2:5]
	v_cndmask_b32_e64 v3, -v9, v9, s[4:5]
	v_cndmask_b32_e64 v2, -v8, v8, s[4:5]
	ds_bpermute_b32 v8, v24, v6
	ds_bpermute_b32 v9, v24, v7
	v_pk_add_f32 v[2:3], v[2:3], v[10:11]
	v_cndmask_b32_e64 v7, -v7, v7, s[4:5]
	v_cndmask_b32_e64 v6, -v6, v6, s[4:5]
	ds_bpermute_b32 v4, v1, v2
	ds_bpermute_b32 v5, v1, v3
	s_waitcnt lgkmcnt(2)
	v_pk_add_f32 v[6:7], v[6:7], v[8:9]
	ds_bpermute_b32 v8, v1, v6
	ds_bpermute_b32 v9, v1, v7
	v_lshrrev_b32_e32 v0, 1, v0
	v_cndmask_b32_e64 v3, -v3, v3, s[8:9]
	v_cndmask_b32_e64 v2, -v2, v2, s[8:9]
	v_lshl_or_b32 v0, v23, 6, v0
	s_waitcnt lgkmcnt(2)
	v_pk_add_f32 v[2:3], v[2:3], v[4:5]
	v_cndmask_b32_e64 v5, -v7, v7, s[8:9]
	v_cndmask_b32_e64 v4, -v6, v6, s[8:9]
	v_xor_b32_e32 v0, v0, v23
	s_waitcnt lgkmcnt(0)
	v_pk_add_f32 v[4:5], v[4:5], v[8:9]
	v_lshl_add_u32 v18, v0, 4, 0
	ds_write_b128 v21, v[2:5] offset:2048
	s_waitcnt lgkmcnt(0)
	s_barrier
	ds_read_b128 v[0:3], v18
	ds_read_b128 v[4:7], v18 offset:2048
	s_waitcnt lgkmcnt(0)
	s_barrier
	ds_bpermute_b32 v8, v22, v0
	ds_bpermute_b32 v9, v22, v1
	;; [unrolled: 1-line block ×8, first 2 shown]
	v_cndmask_b32_e64 v1, -v1, v1, s[2:3]
	v_cndmask_b32_e64 v0, -v0, v0, s[2:3]
	;; [unrolled: 1-line block ×4, first 2 shown]
	s_waitcnt lgkmcnt(4)
	v_pk_add_f32 v[2:3], v[2:3], v[10:11]
	v_pk_add_f32 v[0:1], v[0:1], v[8:9]
	ds_write_b128 v18, v[0:3]
	v_cndmask_b32_e64 v1, -v5, v5, s[2:3]
	v_cndmask_b32_e64 v0, -v4, v4, s[2:3]
	;; [unrolled: 1-line block ×4, first 2 shown]
	s_waitcnt lgkmcnt(1)
	v_pk_add_f32 v[2:3], v[2:3], v[16:17]
	v_pk_add_f32 v[0:1], v[0:1], v[14:15]
	s_mul_i32 s2, s14, s7
	s_mul_hi_u32 s3, s14, s6
	ds_write_b128 v18, v[0:3] offset:2048
	s_waitcnt lgkmcnt(0)
	s_barrier
	ds_read_b128 v[0:3], v21
	ds_read_b128 v[4:7], v21 offset:2048
	s_add_i32 s2, s3, s2
	s_mul_i32 s3, s15, s6
	s_add_i32 s3, s2, s3
	s_mul_i32 s2, s14, s6
	s_lshl_b64 s[2:3], s[2:3], 2
	s_add_u32 s2, s10, s2
	s_addc_u32 s3, s11, s3
	s_mov_b32 s17, s16
	s_and_saveexec_b64 s[4:5], vcc
	s_cbranch_execnz .LBB7_7
; %bb.5:
	s_or_b64 exec, exec, s[4:5]
	s_and_saveexec_b64 s[4:5], s[0:1]
	s_cbranch_execnz .LBB7_8
.LBB7_6:
	s_endpgm
.LBB7_7:
	s_waitcnt lgkmcnt(0)
	v_pk_add_f32 v[8:9], v[0:1], v[4:5]
	v_pk_add_f32 v[10:11], v[2:3], v[6:7]
	v_pk_mul_f32 v[8:9], s[16:17], v[8:9]
	v_pk_mul_f32 v[10:11], s[16:17], v[10:11]
	global_store_dwordx4 v12, v[8:11], s[2:3]
	s_or_b64 exec, exec, s[4:5]
	s_and_saveexec_b64 s[4:5], s[0:1]
	s_cbranch_execz .LBB7_6
.LBB7_8:
	s_waitcnt lgkmcnt(0)
	v_pk_add_f32 v[0:1], v[0:1], v[4:5] neg_lo:[0,1] neg_hi:[0,1]
	v_pk_add_f32 v[2:3], v[2:3], v[6:7] neg_lo:[0,1] neg_hi:[0,1]
	v_pk_mul_f32 v[0:1], s[16:17], v[0:1]
	v_pk_mul_f32 v[2:3], s[16:17], v[2:3]
	global_store_dwordx4 v13, v[0:3], s[2:3]
	s_endpgm
	.section	.rodata,"a",@progbits
	.p2align	6, 0x0
	.amdhsa_kernel _Z30fast_hadamard_transform_kernelI37fast_hadamard_transform_kernel_traitsILi128ELi10EfEEv18HadamardParamsBase
		.amdhsa_group_segment_fixed_size 0
		.amdhsa_private_segment_fixed_size 0
		.amdhsa_kernarg_size 312
		.amdhsa_user_sgpr_count 6
		.amdhsa_user_sgpr_private_segment_buffer 1
		.amdhsa_user_sgpr_dispatch_ptr 0
		.amdhsa_user_sgpr_queue_ptr 0
		.amdhsa_user_sgpr_kernarg_segment_ptr 1
		.amdhsa_user_sgpr_dispatch_id 0
		.amdhsa_user_sgpr_flat_scratch_init 0
		.amdhsa_user_sgpr_kernarg_preload_length 0
		.amdhsa_user_sgpr_kernarg_preload_offset 0
		.amdhsa_user_sgpr_private_segment_size 0
		.amdhsa_uses_dynamic_stack 0
		.amdhsa_system_sgpr_private_segment_wavefront_offset 0
		.amdhsa_system_sgpr_workgroup_id_x 1
		.amdhsa_system_sgpr_workgroup_id_y 0
		.amdhsa_system_sgpr_workgroup_id_z 0
		.amdhsa_system_sgpr_workgroup_info 0
		.amdhsa_system_vgpr_workitem_id 0
		.amdhsa_next_free_vgpr 27
		.amdhsa_next_free_sgpr 19
		.amdhsa_accum_offset 28
		.amdhsa_reserve_vcc 1
		.amdhsa_reserve_flat_scratch 0
		.amdhsa_float_round_mode_32 0
		.amdhsa_float_round_mode_16_64 0
		.amdhsa_float_denorm_mode_32 3
		.amdhsa_float_denorm_mode_16_64 3
		.amdhsa_dx10_clamp 1
		.amdhsa_ieee_mode 1
		.amdhsa_fp16_overflow 0
		.amdhsa_tg_split 0
		.amdhsa_exception_fp_ieee_invalid_op 0
		.amdhsa_exception_fp_denorm_src 0
		.amdhsa_exception_fp_ieee_div_zero 0
		.amdhsa_exception_fp_ieee_overflow 0
		.amdhsa_exception_fp_ieee_underflow 0
		.amdhsa_exception_fp_ieee_inexact 0
		.amdhsa_exception_int_div_zero 0
	.end_amdhsa_kernel
	.section	.text._Z30fast_hadamard_transform_kernelI37fast_hadamard_transform_kernel_traitsILi128ELi10EfEEv18HadamardParamsBase,"axG",@progbits,_Z30fast_hadamard_transform_kernelI37fast_hadamard_transform_kernel_traitsILi128ELi10EfEEv18HadamardParamsBase,comdat
.Lfunc_end7:
	.size	_Z30fast_hadamard_transform_kernelI37fast_hadamard_transform_kernel_traitsILi128ELi10EfEEv18HadamardParamsBase, .Lfunc_end7-_Z30fast_hadamard_transform_kernelI37fast_hadamard_transform_kernel_traitsILi128ELi10EfEEv18HadamardParamsBase
                                        ; -- End function
	.section	.AMDGPU.csdata,"",@progbits
; Kernel info:
; codeLenInByte = 2132
; NumSgprs: 23
; NumVgprs: 27
; NumAgprs: 0
; TotalNumVgprs: 27
; ScratchSize: 0
; MemoryBound: 0
; FloatMode: 240
; IeeeMode: 1
; LDSByteSize: 0 bytes/workgroup (compile time only)
; SGPRBlocks: 2
; VGPRBlocks: 3
; NumSGPRsForWavesPerEU: 23
; NumVGPRsForWavesPerEU: 27
; AccumOffset: 28
; Occupancy: 8
; WaveLimiterHint : 0
; COMPUTE_PGM_RSRC2:SCRATCH_EN: 0
; COMPUTE_PGM_RSRC2:USER_SGPR: 6
; COMPUTE_PGM_RSRC2:TRAP_HANDLER: 0
; COMPUTE_PGM_RSRC2:TGID_X_EN: 1
; COMPUTE_PGM_RSRC2:TGID_Y_EN: 0
; COMPUTE_PGM_RSRC2:TGID_Z_EN: 0
; COMPUTE_PGM_RSRC2:TIDIG_COMP_CNT: 0
; COMPUTE_PGM_RSRC3_GFX90A:ACCUM_OFFSET: 6
; COMPUTE_PGM_RSRC3_GFX90A:TG_SPLIT: 0
	.section	.text._Z30fast_hadamard_transform_kernelI37fast_hadamard_transform_kernel_traitsILi256ELi11EfEEv18HadamardParamsBase,"axG",@progbits,_Z30fast_hadamard_transform_kernelI37fast_hadamard_transform_kernel_traitsILi256ELi11EfEEv18HadamardParamsBase,comdat
	.protected	_Z30fast_hadamard_transform_kernelI37fast_hadamard_transform_kernel_traitsILi256ELi11EfEEv18HadamardParamsBase ; -- Begin function _Z30fast_hadamard_transform_kernelI37fast_hadamard_transform_kernel_traitsILi256ELi11EfEEv18HadamardParamsBase
	.globl	_Z30fast_hadamard_transform_kernelI37fast_hadamard_transform_kernel_traitsILi256ELi11EfEEv18HadamardParamsBase
	.p2align	8
	.type	_Z30fast_hadamard_transform_kernelI37fast_hadamard_transform_kernel_traitsILi256ELi11EfEEv18HadamardParamsBase,@function
_Z30fast_hadamard_transform_kernelI37fast_hadamard_transform_kernel_traitsILi256ELi11EfEEv18HadamardParamsBase: ; @_Z30fast_hadamard_transform_kernelI37fast_hadamard_transform_kernel_traitsILi256ELi11EfEEv18HadamardParamsBase
; %bb.0:
	s_load_dwordx4 s[16:19], s[4:5], 0x10
	s_load_dword s8, s[4:5], 0x4
	s_load_dwordx2 s[20:21], s[4:5], 0x20
	s_load_dwordx4 s[12:15], s[4:5], 0x28
	s_ashr_i32 s7, s6, 31
	s_waitcnt lgkmcnt(0)
	s_mul_hi_u32 s0, s16, s6
	s_mul_i32 s1, s16, s7
	s_add_i32 s0, s0, s1
	s_mul_i32 s1, s17, s6
	s_load_dword s4, s[4:5], 0x44
	s_add_i32 s1, s0, s1
	s_mul_i32 s0, s16, s6
	s_lshl_b64 s[0:1], s[0:1], 2
	s_add_u32 s2, s12, s0
	v_lshlrev_b32_e32 v1, 2, v0
	s_addc_u32 s3, s13, s1
	v_cmp_gt_u32_e32 vcc, s8, v1
	v_mov_b32_e32 v2, 0
	v_lshlrev_b32_e32 v12, 4, v0
	v_mov_b32_e32 v8, 0
	v_mov_b32_e32 v9, 0
	;; [unrolled: 1-line block ×4, first 2 shown]
	s_and_saveexec_b64 s[0:1], vcc
	s_cbranch_execz .LBB8_2
; %bb.1:
	global_load_dwordx4 v[4:7], v12, s[2:3]
	s_waitcnt vmcnt(0)
	v_mov_b32_e32 v8, v4
	v_mov_b32_e32 v9, v6
	;; [unrolled: 1-line block ×3, first 2 shown]
.LBB8_2:
	s_or_b64 exec, exec, s[0:1]
	s_waitcnt lgkmcnt(0)
	s_and_b32 s0, 0xffff, s4
	v_add_u32_e32 v1, s0, v0
	v_lshlrev_b32_e32 v3, 2, v1
	v_cmp_gt_u32_e64 s[0:1], s8, v3
	v_lshlrev_b32_e32 v13, 4, v1
	v_mov_b32_e32 v10, 0
	v_mov_b32_e32 v3, 0
	;; [unrolled: 1-line block ×3, first 2 shown]
	s_and_saveexec_b64 s[4:5], s[0:1]
	s_cbranch_execz .LBB8_4
; %bb.3:
	global_load_dwordx4 v[2:5], v13, s[2:3]
	s_waitcnt vmcnt(0)
	v_mov_b32_e32 v10, v3
	v_mov_b32_e32 v3, v4
	;; [unrolled: 1-line block ×3, first 2 shown]
.LBB8_4:
	s_or_b64 exec, exec, s[4:5]
	v_pk_add_f32 v[4:5], v[8:9], v[6:7] neg_lo:[0,1] neg_hi:[0,1]
	v_pk_add_f32 v[6:7], v[8:9], v[6:7]
	v_pk_add_f32 v[8:9], v[2:3], v[10:11]
	v_pk_add_f32 v[2:3], v[2:3], v[10:11] neg_lo:[0,1] neg_hi:[0,1]
	v_mov_b32_e32 v10, v7
	v_pk_add_f32 v[14:15], v[6:7], v[10:11]
	v_pk_add_f32 v[6:7], v[6:7], v[10:11] neg_lo:[0,1] neg_hi:[0,1]
	v_mov_b32_e32 v10, v9
	;; [unrolled: 3-line block ×4, first 2 shown]
	v_mbcnt_lo_u32_b32 v1, -1, 0
	v_pk_add_f32 v[20:21], v[2:3], v[10:11]
	v_pk_add_f32 v[2:3], v[2:3], v[10:11] neg_lo:[0,1] neg_hi:[0,1]
	v_mbcnt_hi_u32_b32 v1, -1, v1
	v_and_b32_e32 v3, 64, v1
	v_add_u32_e32 v21, 64, v3
	v_xor_b32_e32 v3, 1, v1
	v_cmp_lt_i32_e64 s[2:3], v3, v21
	v_cndmask_b32_e64 v3, v1, v3, s[2:3]
	v_lshlrev_b32_e32 v22, 2, v3
	ds_bpermute_b32 v3, v22, v14
	v_and_b32_e32 v5, 1, v0
	v_cmp_eq_u32_e64 s[2:3], 0, v5
	ds_bpermute_b32 v7, v22, v18
	v_cndmask_b32_e64 v5, -v14, v14, s[2:3]
	s_waitcnt lgkmcnt(1)
	v_add_f32_e32 v3, v5, v3
	ds_bpermute_b32 v5, v22, v6
	v_cndmask_b32_e64 v9, -v18, v18, s[2:3]
	s_waitcnt lgkmcnt(1)
	v_add_f32_e32 v7, v9, v7
	;; [unrolled: 4-line block ×4, first 2 shown]
	v_cndmask_b32_e64 v9, -v16, v16, s[2:3]
	ds_bpermute_b32 v10, v22, v20
	s_waitcnt lgkmcnt(1)
	v_add_f32_e32 v6, v9, v6
	ds_bpermute_b32 v9, v22, v8
	v_cndmask_b32_e64 v8, -v8, v8, s[2:3]
	v_cndmask_b32_e64 v11, -v20, v20, s[2:3]
	s_waitcnt lgkmcnt(1)
	v_add_f32_e32 v10, v11, v10
	v_and_b32_e32 v11, 2, v0
	s_waitcnt lgkmcnt(0)
	v_add_f32_e32 v8, v8, v9
	v_xor_b32_e32 v9, 2, v1
	v_cmp_lt_i32_e64 s[4:5], v9, v21
	v_cndmask_b32_e64 v9, v1, v9, s[4:5]
	v_lshlrev_b32_e32 v20, 2, v9
	ds_bpermute_b32 v9, v20, v3
	v_cmp_eq_u32_e64 s[4:5], 0, v11
	v_cndmask_b32_e64 v3, -v3, v3, s[4:5]
	ds_bpermute_b32 v14, v22, v2
	ds_bpermute_b32 v11, v20, v4
	s_waitcnt lgkmcnt(2)
	v_add_f32_e32 v3, v3, v9
	ds_bpermute_b32 v9, v20, v5
	v_cndmask_b32_e64 v5, -v5, v5, s[4:5]
	v_cndmask_b32_e64 v2, -v2, v2, s[2:3]
	s_waitcnt lgkmcnt(2)
	v_add_f32_e32 v2, v2, v14
	ds_bpermute_b32 v14, v20, v7
	s_waitcnt lgkmcnt(1)
	v_add_f32_e32 v5, v5, v9
	ds_bpermute_b32 v9, v20, v6
	v_cndmask_b32_e64 v6, -v6, v6, s[4:5]
	v_cndmask_b32_e64 v4, -v4, v4, s[4:5]
	v_add_f32_e32 v4, v4, v11
	ds_bpermute_b32 v11, v20, v10
	s_waitcnt lgkmcnt(1)
	v_add_f32_e32 v6, v6, v9
	ds_bpermute_b32 v9, v20, v8
	v_cndmask_b32_e64 v8, -v8, v8, s[4:5]
	v_cndmask_b32_e64 v7, -v7, v7, s[4:5]
	v_add_f32_e32 v7, v7, v14
	ds_bpermute_b32 v14, v20, v2
	s_waitcnt lgkmcnt(1)
	v_add_f32_e32 v8, v8, v9
	v_xor_b32_e32 v9, 4, v1
	v_cmp_lt_i32_e64 s[8:9], v9, v21
	v_cndmask_b32_e64 v9, v1, v9, s[8:9]
	v_cndmask_b32_e64 v10, -v10, v10, s[4:5]
	v_lshlrev_b32_e32 v9, 2, v9
	v_add_f32_e32 v10, v10, v11
	ds_bpermute_b32 v11, v9, v3
	v_cndmask_b32_e64 v2, -v2, v2, s[4:5]
	s_waitcnt lgkmcnt(1)
	v_add_f32_e32 v2, v2, v14
	v_and_b32_e32 v14, 4, v0
	v_cmp_eq_u32_e64 s[8:9], 0, v14
	v_cndmask_b32_e64 v3, -v3, v3, s[8:9]
	s_waitcnt lgkmcnt(0)
	v_add_f32_e32 v3, v3, v11
	ds_bpermute_b32 v11, v9, v5
	ds_bpermute_b32 v14, v9, v4
	v_cndmask_b32_e64 v5, -v5, v5, s[8:9]
	ds_bpermute_b32 v15, v9, v7
	v_cndmask_b32_e64 v4, -v4, v4, s[8:9]
	s_waitcnt lgkmcnt(2)
	v_add_f32_e32 v11, v5, v11
	ds_bpermute_b32 v5, v9, v6
	v_cndmask_b32_e64 v7, -v7, v7, s[8:9]
	s_waitcnt lgkmcnt(2)
	v_add_f32_e32 v14, v4, v14
	v_cndmask_b32_e64 v4, -v6, v6, s[8:9]
	s_waitcnt lgkmcnt(1)
	v_add_f32_e32 v7, v7, v15
	ds_bpermute_b32 v6, v9, v10
	s_waitcnt lgkmcnt(1)
	v_add_f32_e32 v15, v4, v5
	ds_bpermute_b32 v4, v9, v8
	ds_bpermute_b32 v9, v9, v2
	v_cndmask_b32_e64 v2, -v2, v2, s[8:9]
	v_cndmask_b32_e64 v5, -v10, v10, s[8:9]
	s_waitcnt lgkmcnt(2)
	v_add_f32_e32 v16, v5, v6
	v_cndmask_b32_e64 v5, -v8, v8, s[8:9]
	s_waitcnt lgkmcnt(0)
	v_add_f32_e32 v19, v2, v9
	v_xor_b32_e32 v2, 8, v1
	v_cmp_lt_i32_e64 s[8:9], v2, v21
	v_add_f32_e32 v17, v5, v4
	v_and_b32_e32 v4, 8, v0
	v_cndmask_b32_e64 v2, v1, v2, s[8:9]
	v_lshlrev_b32_e32 v23, 2, v2
	v_cmp_eq_u32_e64 s[8:9], 0, v4
	ds_bpermute_b32 v2, v23, v3
	v_cndmask_b32_e64 v4, -v3, v3, s[8:9]
	ds_bpermute_b32 v3, v23, v7
	v_xor_b32_e32 v24, 16, v1
	v_cndmask_b32_e64 v5, -v7, v7, s[8:9]
	ds_bpermute_b32 v6, v23, v11
	v_cndmask_b32_e64 v8, -v11, v11, s[8:9]
	ds_bpermute_b32 v7, v23, v14
	;; [unrolled: 2-line block ×6, first 2 shown]
	v_cndmask_b32_e64 v19, -v19, v19, s[8:9]
	v_cmp_lt_i32_e64 s[8:9], v24, v21
	v_cndmask_b32_e64 v24, v1, v24, s[8:9]
	v_lshlrev_b32_e32 v24, 2, v24
	s_waitcnt lgkmcnt(6)
	v_pk_add_f32 v[2:3], v[4:5], v[2:3]
	ds_bpermute_b32 v4, v24, v2
	ds_bpermute_b32 v5, v24, v3
	v_xor_b32_e32 v26, 32, v1
	v_and_b32_e32 v23, 16, v0
	v_cmp_lt_i32_e64 s[8:9], v26, v21
	v_cndmask_b32_e64 v1, v1, v26, s[8:9]
	v_cmp_eq_u32_e64 s[8:9], 0, v23
	v_cndmask_b32_e64 v3, -v3, v3, s[8:9]
	v_cndmask_b32_e64 v2, -v2, v2, s[8:9]
	v_lshlrev_b32_e32 v1, 2, v1
	s_waitcnt lgkmcnt(0)
	v_pk_add_f32 v[2:3], v[2:3], v[4:5]
	ds_bpermute_b32 v4, v1, v2
	ds_bpermute_b32 v5, v1, v3
	v_pk_add_f32 v[6:7], v[8:9], v[6:7]
	ds_bpermute_b32 v8, v24, v6
	ds_bpermute_b32 v9, v24, v7
	v_and_b32_e32 v25, 32, v0
	v_cmp_eq_u32_e64 s[10:11], 0, v25
	v_cndmask_b32_e64 v3, -v3, v3, s[10:11]
	v_cndmask_b32_e64 v2, -v2, v2, s[10:11]
	s_waitcnt lgkmcnt(2)
	v_pk_add_f32 v[2:3], v[2:3], v[4:5]
	v_cndmask_b32_e64 v5, -v7, v7, s[8:9]
	v_cndmask_b32_e64 v4, -v6, v6, s[8:9]
	s_waitcnt lgkmcnt(0)
	v_pk_add_f32 v[4:5], v[4:5], v[8:9]
	ds_bpermute_b32 v6, v1, v4
	ds_bpermute_b32 v7, v1, v5
	v_lshrrev_b32_e32 v21, 6, v0
	v_xor_b32_e32 v21, v21, v0
	v_cndmask_b32_e64 v5, -v5, v5, s[10:11]
	v_cndmask_b32_e64 v4, -v4, v4, s[10:11]
	v_pk_add_f32 v[8:9], v[14:15], v[10:11]
	v_lshl_add_u32 v21, v21, 4, 0
	ds_bpermute_b32 v10, v24, v8
	ds_bpermute_b32 v11, v24, v9
	s_waitcnt lgkmcnt(2)
	v_pk_add_f32 v[4:5], v[4:5], v[6:7]
	v_pk_add_f32 v[6:7], v[18:19], v[16:17]
	s_waitcnt lgkmcnt(0)
	s_barrier
	ds_write_b128 v21, v[2:5]
	v_cndmask_b32_e64 v3, -v9, v9, s[8:9]
	v_cndmask_b32_e64 v2, -v8, v8, s[8:9]
	ds_bpermute_b32 v8, v24, v6
	ds_bpermute_b32 v9, v24, v7
	v_pk_add_f32 v[2:3], v[2:3], v[10:11]
	v_cndmask_b32_e64 v7, -v7, v7, s[8:9]
	v_cndmask_b32_e64 v6, -v6, v6, s[8:9]
	ds_bpermute_b32 v4, v1, v2
	ds_bpermute_b32 v5, v1, v3
	s_waitcnt lgkmcnt(2)
	v_pk_add_f32 v[6:7], v[6:7], v[8:9]
	ds_bpermute_b32 v8, v1, v6
	ds_bpermute_b32 v9, v1, v7
	v_and_b32_e32 v26, 3, v0
	v_lshrrev_b32_e32 v0, 2, v0
	v_cndmask_b32_e64 v3, -v3, v3, s[10:11]
	v_cndmask_b32_e64 v2, -v2, v2, s[10:11]
	v_lshl_or_b32 v0, v26, 6, v0
	s_waitcnt lgkmcnt(2)
	v_pk_add_f32 v[2:3], v[2:3], v[4:5]
	v_cndmask_b32_e64 v5, -v7, v7, s[10:11]
	v_cndmask_b32_e64 v4, -v6, v6, s[10:11]
	v_xor_b32_e32 v0, v0, v26
	s_waitcnt lgkmcnt(0)
	v_pk_add_f32 v[4:5], v[4:5], v[8:9]
	v_lshl_add_u32 v18, v0, 4, 0
	ds_write_b128 v21, v[2:5] offset:4096
	s_waitcnt lgkmcnt(0)
	s_barrier
	ds_read_b128 v[0:3], v18
	ds_read_b128 v[4:7], v18 offset:4096
	s_waitcnt lgkmcnt(0)
	s_barrier
	ds_bpermute_b32 v8, v22, v0
	ds_bpermute_b32 v9, v22, v1
	;; [unrolled: 1-line block ×4, first 2 shown]
	v_cndmask_b32_e64 v1, -v1, v1, s[2:3]
	v_cndmask_b32_e64 v0, -v0, v0, s[2:3]
	;; [unrolled: 1-line block ×4, first 2 shown]
	s_waitcnt lgkmcnt(0)
	v_pk_add_f32 v[2:3], v[2:3], v[10:11]
	v_pk_add_f32 v[0:1], v[0:1], v[8:9]
	ds_bpermute_b32 v8, v20, v0
	ds_bpermute_b32 v9, v20, v1
	;; [unrolled: 1-line block ×8, first 2 shown]
	v_cndmask_b32_e64 v1, -v1, v1, s[4:5]
	v_cndmask_b32_e64 v0, -v0, v0, s[4:5]
	;; [unrolled: 1-line block ×4, first 2 shown]
	s_waitcnt lgkmcnt(4)
	v_pk_add_f32 v[2:3], v[2:3], v[10:11]
	v_pk_add_f32 v[0:1], v[0:1], v[8:9]
	ds_write_b128 v18, v[0:3]
	v_cndmask_b32_e64 v1, -v5, v5, s[2:3]
	v_cndmask_b32_e64 v0, -v4, v4, s[2:3]
	;; [unrolled: 1-line block ×4, first 2 shown]
	s_waitcnt lgkmcnt(1)
	v_pk_add_f32 v[2:3], v[2:3], v[16:17]
	v_pk_add_f32 v[0:1], v[0:1], v[14:15]
	ds_bpermute_b32 v4, v20, v0
	ds_bpermute_b32 v5, v20, v1
	;; [unrolled: 1-line block ×4, first 2 shown]
	v_cndmask_b32_e64 v1, -v1, v1, s[4:5]
	v_cndmask_b32_e64 v0, -v0, v0, s[4:5]
	;; [unrolled: 1-line block ×4, first 2 shown]
	s_waitcnt lgkmcnt(0)
	v_pk_add_f32 v[2:3], v[2:3], v[6:7]
	v_pk_add_f32 v[0:1], v[0:1], v[4:5]
	s_mul_i32 s2, s18, s7
	s_mul_hi_u32 s3, s18, s6
	ds_write_b128 v18, v[0:3] offset:4096
	s_waitcnt lgkmcnt(0)
	s_barrier
	ds_read_b128 v[0:3], v21
	ds_read_b128 v[4:7], v21 offset:4096
	s_add_i32 s2, s3, s2
	s_mul_i32 s3, s19, s6
	s_add_i32 s3, s2, s3
	s_mul_i32 s2, s18, s6
	s_lshl_b64 s[2:3], s[2:3], 2
	s_add_u32 s2, s14, s2
	s_addc_u32 s3, s15, s3
	s_mov_b32 s21, s20
	s_and_saveexec_b64 s[4:5], vcc
	s_cbranch_execnz .LBB8_7
; %bb.5:
	s_or_b64 exec, exec, s[4:5]
	s_and_saveexec_b64 s[4:5], s[0:1]
	s_cbranch_execnz .LBB8_8
.LBB8_6:
	s_endpgm
.LBB8_7:
	s_waitcnt lgkmcnt(0)
	v_pk_add_f32 v[8:9], v[0:1], v[4:5]
	v_pk_add_f32 v[10:11], v[2:3], v[6:7]
	v_pk_mul_f32 v[8:9], s[20:21], v[8:9]
	v_pk_mul_f32 v[10:11], s[20:21], v[10:11]
	global_store_dwordx4 v12, v[8:11], s[2:3]
	s_or_b64 exec, exec, s[4:5]
	s_and_saveexec_b64 s[4:5], s[0:1]
	s_cbranch_execz .LBB8_6
.LBB8_8:
	s_waitcnt lgkmcnt(0)
	v_pk_add_f32 v[0:1], v[0:1], v[4:5] neg_lo:[0,1] neg_hi:[0,1]
	v_pk_add_f32 v[2:3], v[2:3], v[6:7] neg_lo:[0,1] neg_hi:[0,1]
	v_pk_mul_f32 v[0:1], s[20:21], v[0:1]
	v_pk_mul_f32 v[2:3], s[20:21], v[2:3]
	global_store_dwordx4 v13, v[0:3], s[2:3]
	s_endpgm
	.section	.rodata,"a",@progbits
	.p2align	6, 0x0
	.amdhsa_kernel _Z30fast_hadamard_transform_kernelI37fast_hadamard_transform_kernel_traitsILi256ELi11EfEEv18HadamardParamsBase
		.amdhsa_group_segment_fixed_size 0
		.amdhsa_private_segment_fixed_size 0
		.amdhsa_kernarg_size 312
		.amdhsa_user_sgpr_count 6
		.amdhsa_user_sgpr_private_segment_buffer 1
		.amdhsa_user_sgpr_dispatch_ptr 0
		.amdhsa_user_sgpr_queue_ptr 0
		.amdhsa_user_sgpr_kernarg_segment_ptr 1
		.amdhsa_user_sgpr_dispatch_id 0
		.amdhsa_user_sgpr_flat_scratch_init 0
		.amdhsa_user_sgpr_kernarg_preload_length 0
		.amdhsa_user_sgpr_kernarg_preload_offset 0
		.amdhsa_user_sgpr_private_segment_size 0
		.amdhsa_uses_dynamic_stack 0
		.amdhsa_system_sgpr_private_segment_wavefront_offset 0
		.amdhsa_system_sgpr_workgroup_id_x 1
		.amdhsa_system_sgpr_workgroup_id_y 0
		.amdhsa_system_sgpr_workgroup_id_z 0
		.amdhsa_system_sgpr_workgroup_info 0
		.amdhsa_system_vgpr_workitem_id 0
		.amdhsa_next_free_vgpr 27
		.amdhsa_next_free_sgpr 22
		.amdhsa_accum_offset 28
		.amdhsa_reserve_vcc 1
		.amdhsa_reserve_flat_scratch 0
		.amdhsa_float_round_mode_32 0
		.amdhsa_float_round_mode_16_64 0
		.amdhsa_float_denorm_mode_32 3
		.amdhsa_float_denorm_mode_16_64 3
		.amdhsa_dx10_clamp 1
		.amdhsa_ieee_mode 1
		.amdhsa_fp16_overflow 0
		.amdhsa_tg_split 0
		.amdhsa_exception_fp_ieee_invalid_op 0
		.amdhsa_exception_fp_denorm_src 0
		.amdhsa_exception_fp_ieee_div_zero 0
		.amdhsa_exception_fp_ieee_overflow 0
		.amdhsa_exception_fp_ieee_underflow 0
		.amdhsa_exception_fp_ieee_inexact 0
		.amdhsa_exception_int_div_zero 0
	.end_amdhsa_kernel
	.section	.text._Z30fast_hadamard_transform_kernelI37fast_hadamard_transform_kernel_traitsILi256ELi11EfEEv18HadamardParamsBase,"axG",@progbits,_Z30fast_hadamard_transform_kernelI37fast_hadamard_transform_kernel_traitsILi256ELi11EfEEv18HadamardParamsBase,comdat
.Lfunc_end8:
	.size	_Z30fast_hadamard_transform_kernelI37fast_hadamard_transform_kernel_traitsILi256ELi11EfEEv18HadamardParamsBase, .Lfunc_end8-_Z30fast_hadamard_transform_kernelI37fast_hadamard_transform_kernel_traitsILi256ELi11EfEEv18HadamardParamsBase
                                        ; -- End function
	.section	.AMDGPU.csdata,"",@progbits
; Kernel info:
; codeLenInByte = 2300
; NumSgprs: 26
; NumVgprs: 27
; NumAgprs: 0
; TotalNumVgprs: 27
; ScratchSize: 0
; MemoryBound: 0
; FloatMode: 240
; IeeeMode: 1
; LDSByteSize: 0 bytes/workgroup (compile time only)
; SGPRBlocks: 3
; VGPRBlocks: 3
; NumSGPRsForWavesPerEU: 26
; NumVGPRsForWavesPerEU: 27
; AccumOffset: 28
; Occupancy: 8
; WaveLimiterHint : 0
; COMPUTE_PGM_RSRC2:SCRATCH_EN: 0
; COMPUTE_PGM_RSRC2:USER_SGPR: 6
; COMPUTE_PGM_RSRC2:TRAP_HANDLER: 0
; COMPUTE_PGM_RSRC2:TGID_X_EN: 1
; COMPUTE_PGM_RSRC2:TGID_Y_EN: 0
; COMPUTE_PGM_RSRC2:TGID_Z_EN: 0
; COMPUTE_PGM_RSRC2:TIDIG_COMP_CNT: 0
; COMPUTE_PGM_RSRC3_GFX90A:ACCUM_OFFSET: 6
; COMPUTE_PGM_RSRC3_GFX90A:TG_SPLIT: 0
	.section	.text._Z30fast_hadamard_transform_kernelI37fast_hadamard_transform_kernel_traitsILi256ELi12EfEEv18HadamardParamsBase,"axG",@progbits,_Z30fast_hadamard_transform_kernelI37fast_hadamard_transform_kernel_traitsILi256ELi12EfEEv18HadamardParamsBase,comdat
	.protected	_Z30fast_hadamard_transform_kernelI37fast_hadamard_transform_kernel_traitsILi256ELi12EfEEv18HadamardParamsBase ; -- Begin function _Z30fast_hadamard_transform_kernelI37fast_hadamard_transform_kernel_traitsILi256ELi12EfEEv18HadamardParamsBase
	.globl	_Z30fast_hadamard_transform_kernelI37fast_hadamard_transform_kernel_traitsILi256ELi12EfEEv18HadamardParamsBase
	.p2align	8
	.type	_Z30fast_hadamard_transform_kernelI37fast_hadamard_transform_kernel_traitsILi256ELi12EfEEv18HadamardParamsBase,@function
_Z30fast_hadamard_transform_kernelI37fast_hadamard_transform_kernel_traitsILi256ELi12EfEEv18HadamardParamsBase: ; @_Z30fast_hadamard_transform_kernelI37fast_hadamard_transform_kernel_traitsILi256ELi12EfEEv18HadamardParamsBase
; %bb.0:
	s_load_dwordx4 s[16:19], s[4:5], 0x10
	s_load_dword s10, s[4:5], 0x4
	s_ashr_i32 s7, s6, 31
	s_load_dwordx4 s[20:23], s[4:5], 0x28
	s_load_dword s2, s[4:5], 0x44
	s_waitcnt lgkmcnt(0)
	s_mul_hi_u32 s0, s16, s6
	s_mul_i32 s1, s16, s7
	s_add_i32 s0, s0, s1
	s_mul_i32 s1, s17, s6
	s_add_i32 s1, s0, s1
	s_mul_i32 s0, s16, s6
	s_lshl_b64 s[0:1], s[0:1], 2
	s_add_u32 s8, s20, s0
	v_lshlrev_b32_e32 v1, 2, v0
	s_addc_u32 s9, s21, s1
	v_cmp_gt_u32_e32 vcc, s10, v1
	v_mov_b32_e32 v16, 0
	v_lshlrev_b32_e32 v24, 4, v0
	v_mov_b32_e32 v18, 0
	v_mov_b32_e32 v19, 0
	;; [unrolled: 1-line block ×4, first 2 shown]
	s_and_saveexec_b64 s[0:1], vcc
	s_cbranch_execz .LBB9_2
; %bb.1:
	global_load_dwordx4 v[2:5], v24, s[8:9]
	s_waitcnt vmcnt(0)
	v_mov_b32_e32 v18, v2
	v_mov_b32_e32 v19, v4
	;; [unrolled: 1-line block ×3, first 2 shown]
.LBB9_2:
	s_or_b64 exec, exec, s[0:1]
	s_and_b32 s11, 0xffff, s2
	v_add_u32_e32 v1, s11, v0
	v_lshlrev_b32_e32 v2, 2, v1
	v_cmp_gt_u32_e64 s[0:1], s10, v2
	v_lshlrev_b32_e32 v25, 4, v1
	v_mov_b32_e32 v17, 0
	v_mov_b32_e32 v8, 0
	;; [unrolled: 1-line block ×3, first 2 shown]
	s_and_saveexec_b64 s[2:3], s[0:1]
	s_cbranch_execz .LBB9_4
; %bb.3:
	global_load_dwordx4 v[6:9], v25, s[8:9]
	s_waitcnt vmcnt(0)
	v_mov_b32_e32 v16, v6
	v_mov_b32_e32 v17, v8
	;; [unrolled: 1-line block ×3, first 2 shown]
.LBB9_4:
	s_or_b64 exec, exec, s[2:3]
	s_load_dwordx2 s[16:17], s[4:5], 0x20
	v_add_u32_e32 v1, s11, v1
	v_lshlrev_b32_e32 v2, 2, v1
	v_cmp_gt_u32_e64 s[2:3], s10, v2
	v_mov_b32_e32 v10, 0
	v_lshlrev_b32_e32 v26, 4, v1
	v_mov_b32_e32 v2, 0
	v_mov_b32_e32 v3, 0
	;; [unrolled: 1-line block ×4, first 2 shown]
	s_and_saveexec_b64 s[4:5], s[2:3]
	s_cbranch_execz .LBB9_6
; %bb.5:
	global_load_dwordx4 v[12:15], v26, s[8:9]
	s_waitcnt vmcnt(0)
	v_mov_b32_e32 v2, v12
	v_mov_b32_e32 v3, v14
	;; [unrolled: 1-line block ×3, first 2 shown]
.LBB9_6:
	s_or_b64 exec, exec, s[4:5]
	v_add_u32_e32 v1, s11, v1
	v_lshlrev_b32_e32 v6, 2, v1
	v_cmp_gt_u32_e64 s[4:5], s10, v6
	v_lshlrev_b32_e32 v27, 4, v1
	v_mov_b32_e32 v6, 0
	v_mov_b32_e32 v11, 0
	;; [unrolled: 1-line block ×3, first 2 shown]
	s_and_saveexec_b64 s[10:11], s[4:5]
	s_cbranch_execz .LBB9_8
; %bb.7:
	global_load_dwordx4 v[10:13], v27, s[8:9]
	s_waitcnt vmcnt(0)
	v_mov_b32_e32 v6, v11
	v_mov_b32_e32 v11, v12
	;; [unrolled: 1-line block ×3, first 2 shown]
.LBB9_8:
	s_or_b64 exec, exec, s[10:11]
	v_pk_add_f32 v[12:13], v[18:19], v[4:5] neg_lo:[0,1] neg_hi:[0,1]
	v_pk_add_f32 v[4:5], v[18:19], v[4:5]
	v_pk_add_f32 v[20:21], v[16:17], v[8:9] neg_lo:[0,1] neg_hi:[0,1]
	v_pk_add_f32 v[22:23], v[2:3], v[14:15] neg_lo:[0,1] neg_hi:[0,1]
	v_pk_add_f32 v[8:9], v[16:17], v[8:9]
	v_pk_add_f32 v[2:3], v[2:3], v[14:15]
	;; [unrolled: 1-line block ×3, first 2 shown]
	v_pk_add_f32 v[6:7], v[10:11], v[6:7] neg_lo:[0,1] neg_hi:[0,1]
	v_mov_b32_e32 v10, v5
	v_pk_add_f32 v[16:17], v[4:5], v[10:11]
	v_pk_add_f32 v[4:5], v[4:5], v[10:11] neg_lo:[0,1] neg_hi:[0,1]
	v_mov_b32_e32 v10, v9
	v_pk_add_f32 v[18:19], v[8:9], v[10:11]
	;; [unrolled: 3-line block ×7, first 2 shown]
	v_pk_add_f32 v[22:23], v[22:23], v[2:3] neg_lo:[0,1] neg_hi:[0,1]
	v_mov_b32_e32 v2, v7
	v_mbcnt_lo_u32_b32 v1, -1, 0
	v_pk_add_f32 v[38:39], v[6:7], v[2:3]
	v_pk_add_f32 v[6:7], v[6:7], v[2:3] neg_lo:[0,1] neg_hi:[0,1]
	v_mbcnt_hi_u32_b32 v3, -1, v1
	v_and_b32_e32 v1, 64, v3
	v_add_u32_e32 v40, 64, v1
	v_xor_b32_e32 v1, 1, v3
	v_cmp_lt_i32_e64 s[8:9], v1, v40
	v_cndmask_b32_e64 v1, v3, v1, s[8:9]
	v_lshlrev_b32_e32 v2, 2, v1
	ds_bpermute_b32 v1, v2, v16
	v_and_b32_e32 v5, 1, v0
	v_cmp_eq_u32_e64 s[14:15], 0, v5
	ds_bpermute_b32 v7, v2, v32
	v_cndmask_b32_e64 v5, -v16, v16, s[14:15]
	s_waitcnt lgkmcnt(0)
	v_add_f32_e32 v5, v5, v1
	ds_bpermute_b32 v1, v2, v4
	v_cndmask_b32_e64 v9, -v32, v32, s[14:15]
	v_add_f32_e32 v7, v9, v7
	ds_bpermute_b32 v9, v2, v12
	v_cndmask_b32_e64 v4, -v4, v4, s[14:15]
	s_waitcnt lgkmcnt(1)
	v_add_f32_e32 v4, v4, v1
	ds_bpermute_b32 v1, v2, v18
	v_cndmask_b32_e64 v11, -v12, v12, s[14:15]
	s_waitcnt lgkmcnt(1)
	;; [unrolled: 4-line block ×10, first 2 shown]
	v_add_f32_e32 v17, v18, v17
	v_cndmask_b32_e64 v18, -v30, v30, s[14:15]
	ds_bpermute_b32 v21, v2, v6
	s_waitcnt lgkmcnt(1)
	v_add_f32_e32 v18, v18, v1
	ds_bpermute_b32 v1, v2, v14
	v_cndmask_b32_e64 v14, -v14, v14, s[14:15]
	ds_bpermute_b32 v19, v2, v38
	v_cndmask_b32_e64 v20, -v38, v38, s[14:15]
	v_xor_b32_e32 v42, 16, v3
	s_waitcnt lgkmcnt(1)
	v_add_f32_e32 v14, v14, v1
	v_cndmask_b32_e64 v1, -v6, v6, s[14:15]
	v_add_f32_e32 v6, v1, v21
	v_xor_b32_e32 v1, 2, v3
	v_cmp_lt_i32_e64 s[8:9], v1, v40
	v_cndmask_b32_e64 v1, v3, v1, s[8:9]
	v_lshlrev_b32_e32 v1, 2, v1
	s_waitcnt lgkmcnt(0)
	v_add_f32_e32 v19, v20, v19
	ds_bpermute_b32 v20, v1, v5
	v_and_b32_e32 v21, 2, v0
	v_cmp_eq_u32_e64 s[8:9], 0, v21
	v_cndmask_b32_e64 v5, -v5, v5, s[8:9]
	ds_bpermute_b32 v21, v1, v9
	s_waitcnt lgkmcnt(1)
	v_add_f32_e32 v5, v5, v20
	ds_bpermute_b32 v20, v1, v4
	v_cndmask_b32_e64 v4, -v4, v4, s[8:9]
	v_cndmask_b32_e64 v9, -v9, v9, s[8:9]
	s_waitcnt lgkmcnt(1)
	v_add_f32_e32 v9, v9, v21
	ds_bpermute_b32 v21, v1, v11
	s_waitcnt lgkmcnt(1)
	v_add_f32_e32 v4, v4, v20
	ds_bpermute_b32 v20, v1, v12
	v_cndmask_b32_e64 v12, -v12, v12, s[8:9]
	v_cndmask_b32_e64 v11, -v11, v11, s[8:9]
	s_waitcnt lgkmcnt(1)
	v_add_f32_e32 v11, v11, v21
	;; [unrolled: 8-line block ×4, first 2 shown]
	ds_bpermute_b32 v21, v1, v17
	s_waitcnt lgkmcnt(1)
	v_add_f32_e32 v16, v16, v20
	ds_bpermute_b32 v20, v1, v10
	v_cndmask_b32_e64 v10, -v10, v10, s[8:9]
	ds_bpermute_b32 v22, v1, v7
	v_cndmask_b32_e64 v17, -v17, v17, s[8:9]
	s_waitcnt lgkmcnt(2)
	v_add_f32_e32 v17, v17, v21
	s_waitcnt lgkmcnt(1)
	v_add_f32_e32 v10, v10, v20
	ds_bpermute_b32 v20, v1, v18
	v_cndmask_b32_e64 v18, -v18, v18, s[8:9]
	ds_bpermute_b32 v21, v1, v19
	v_cndmask_b32_e64 v7, -v7, v7, s[8:9]
	s_waitcnt lgkmcnt(2)
	v_add_f32_e32 v7, v7, v22
	;; [unrolled: 8-line block ×3, first 2 shown]
	s_waitcnt lgkmcnt(1)
	v_add_f32_e32 v14, v14, v20
	v_xor_b32_e32 v20, 4, v3
	v_cmp_lt_i32_e64 s[10:11], v20, v40
	v_cndmask_b32_e64 v20, v3, v20, s[10:11]
	v_lshlrev_b32_e32 v20, 2, v20
	ds_bpermute_b32 v21, v20, v5
	v_cndmask_b32_e64 v6, -v6, v6, s[8:9]
	s_waitcnt lgkmcnt(1)
	v_add_f32_e32 v6, v6, v22
	v_and_b32_e32 v22, 4, v0
	v_cmp_eq_u32_e64 s[10:11], 0, v22
	v_cndmask_b32_e64 v5, -v5, v5, s[10:11]
	s_waitcnt lgkmcnt(0)
	v_add_f32_e32 v5, v5, v21
	ds_bpermute_b32 v21, v20, v4
	ds_bpermute_b32 v22, v20, v9
	v_cndmask_b32_e64 v4, -v4, v4, s[10:11]
	ds_bpermute_b32 v23, v20, v7
	v_cndmask_b32_e64 v9, -v9, v9, s[10:11]
	s_waitcnt lgkmcnt(2)
	v_add_f32_e32 v21, v4, v21
	ds_bpermute_b32 v4, v20, v12
	v_cndmask_b32_e64 v7, -v7, v7, s[10:11]
	s_waitcnt lgkmcnt(2)
	v_add_f32_e32 v22, v9, v22
	;; [unrolled: 4-line block ×3, first 2 shown]
	s_waitcnt lgkmcnt(1)
	v_add_f32_e32 v23, v12, v4
	ds_bpermute_b32 v4, v20, v8
	v_cndmask_b32_e64 v11, -v11, v11, s[10:11]
	s_waitcnt lgkmcnt(1)
	v_add_f32_e32 v28, v11, v9
	ds_bpermute_b32 v9, v20, v13
	v_cndmask_b32_e64 v8, -v8, v8, s[10:11]
	;; [unrolled: 4-line block ×7, first 2 shown]
	s_waitcnt lgkmcnt(1)
	v_add_f32_e32 v34, v9, v8
	v_cndmask_b32_e64 v8, -v18, v18, s[10:11]
	ds_bpermute_b32 v9, v20, v19
	s_waitcnt lgkmcnt(1)
	v_add_f32_e32 v35, v8, v4
	ds_bpermute_b32 v4, v20, v14
	ds_bpermute_b32 v10, v20, v6
	v_cndmask_b32_e64 v8, -v19, v19, s[10:11]
	s_waitcnt lgkmcnt(2)
	v_add_f32_e32 v36, v8, v9
	v_cndmask_b32_e64 v8, -v14, v14, s[10:11]
	s_waitcnt lgkmcnt(1)
	v_add_f32_e32 v37, v8, v4
	;; [unrolled: 3-line block ×3, first 2 shown]
	v_xor_b32_e32 v4, 8, v3
	v_cmp_lt_i32_e64 s[10:11], v4, v40
	v_and_b32_e32 v6, 8, v0
	v_cndmask_b32_e64 v4, v3, v4, s[10:11]
	v_lshlrev_b32_e32 v41, 2, v4
	v_cmp_eq_u32_e64 s[10:11], 0, v6
	ds_bpermute_b32 v4, v41, v5
	v_cndmask_b32_e64 v6, -v5, v5, s[10:11]
	ds_bpermute_b32 v5, v41, v7
	v_cndmask_b32_e64 v7, -v7, v7, s[10:11]
	;; [unrolled: 2-line block ×16, first 2 shown]
	v_cmp_lt_i32_e64 s[10:11], v42, v40
	v_cndmask_b32_e64 v42, v3, v42, s[10:11]
	v_lshlrev_b32_e32 v42, 2, v42
	s_waitcnt lgkmcnt(14)
	v_pk_add_f32 v[4:5], v[6:7], v[4:5]
	ds_bpermute_b32 v6, v42, v4
	ds_bpermute_b32 v7, v42, v5
	v_and_b32_e32 v41, 16, v0
	v_xor_b32_e32 v44, 32, v3
	v_cmp_lt_i32_e64 s[10:11], v44, v40
	v_cmp_eq_u32_e64 s[12:13], 0, v41
	v_cndmask_b32_e64 v3, v3, v44, s[10:11]
	v_cndmask_b32_e64 v5, -v5, v5, s[12:13]
	v_cndmask_b32_e64 v4, -v4, v4, s[12:13]
	v_lshlrev_b32_e32 v3, 2, v3
	s_waitcnt lgkmcnt(0)
	v_pk_add_f32 v[4:5], v[4:5], v[6:7]
	ds_bpermute_b32 v6, v3, v4
	ds_bpermute_b32 v7, v3, v5
	v_pk_add_f32 v[8:9], v[10:11], v[8:9]
	ds_bpermute_b32 v10, v42, v8
	ds_bpermute_b32 v11, v42, v9
	v_and_b32_e32 v43, 32, v0
	v_cmp_eq_u32_e64 s[10:11], 0, v43
	v_cndmask_b32_e64 v5, -v5, v5, s[10:11]
	v_cndmask_b32_e64 v4, -v4, v4, s[10:11]
	s_waitcnt lgkmcnt(2)
	v_pk_add_f32 v[4:5], v[4:5], v[6:7]
	v_cndmask_b32_e64 v7, -v9, v9, s[12:13]
	v_cndmask_b32_e64 v6, -v8, v8, s[12:13]
	s_waitcnt lgkmcnt(0)
	v_pk_add_f32 v[6:7], v[6:7], v[10:11]
	ds_bpermute_b32 v8, v3, v6
	ds_bpermute_b32 v9, v3, v7
	v_pk_add_f32 v[10:11], v[14:15], v[12:13]
	ds_bpermute_b32 v12, v42, v10
	ds_bpermute_b32 v13, v42, v11
	v_lshrrev_b32_e32 v40, 6, v0
	v_xor_b32_e32 v40, v40, v0
	v_cndmask_b32_e64 v7, -v7, v7, s[10:11]
	v_cndmask_b32_e64 v6, -v6, v6, s[10:11]
	v_lshl_add_u32 v40, v40, 4, 0
	s_waitcnt lgkmcnt(2)
	v_pk_add_f32 v[6:7], v[6:7], v[8:9]
	s_waitcnt lgkmcnt(0)
	s_barrier
	ds_write_b128 v40, v[4:7]
	v_cndmask_b32_e64 v5, -v11, v11, s[12:13]
	v_cndmask_b32_e64 v4, -v10, v10, s[12:13]
	v_pk_add_f32 v[4:5], v[4:5], v[12:13]
	ds_bpermute_b32 v6, v3, v4
	ds_bpermute_b32 v7, v3, v5
	v_pk_add_f32 v[8:9], v[18:19], v[16:17]
	ds_bpermute_b32 v10, v42, v8
	ds_bpermute_b32 v11, v42, v9
	v_cndmask_b32_e64 v5, -v5, v5, s[10:11]
	v_cndmask_b32_e64 v4, -v4, v4, s[10:11]
	s_waitcnt lgkmcnt(2)
	v_pk_add_f32 v[4:5], v[4:5], v[6:7]
	v_cndmask_b32_e64 v7, -v9, v9, s[12:13]
	v_cndmask_b32_e64 v6, -v8, v8, s[12:13]
	s_waitcnt lgkmcnt(0)
	v_pk_add_f32 v[6:7], v[6:7], v[10:11]
	ds_bpermute_b32 v8, v3, v6
	ds_bpermute_b32 v9, v3, v7
	v_pk_add_f32 v[10:11], v[22:23], v[20:21]
	ds_bpermute_b32 v12, v42, v10
	ds_bpermute_b32 v13, v42, v11
	v_cndmask_b32_e64 v7, -v7, v7, s[10:11]
	v_cndmask_b32_e64 v6, -v6, v6, s[10:11]
	s_waitcnt lgkmcnt(2)
	v_pk_add_f32 v[6:7], v[6:7], v[8:9]
	ds_write_b128 v40, v[4:7] offset:4096
	v_cndmask_b32_e64 v5, -v11, v11, s[12:13]
	v_cndmask_b32_e64 v4, -v10, v10, s[12:13]
	s_waitcnt lgkmcnt(1)
	v_pk_add_f32 v[4:5], v[4:5], v[12:13]
	ds_bpermute_b32 v6, v3, v4
	ds_bpermute_b32 v7, v3, v5
	v_pk_add_f32 v[8:9], v[30:31], v[28:29]
	ds_bpermute_b32 v10, v42, v8
	ds_bpermute_b32 v11, v42, v9
	v_cndmask_b32_e64 v5, -v5, v5, s[10:11]
	v_cndmask_b32_e64 v4, -v4, v4, s[10:11]
	s_waitcnt lgkmcnt(2)
	v_pk_add_f32 v[4:5], v[4:5], v[6:7]
	v_cndmask_b32_e64 v7, -v9, v9, s[12:13]
	v_cndmask_b32_e64 v6, -v8, v8, s[12:13]
	s_waitcnt lgkmcnt(0)
	v_pk_add_f32 v[6:7], v[6:7], v[10:11]
	ds_bpermute_b32 v8, v3, v6
	ds_bpermute_b32 v9, v3, v7
	v_cndmask_b32_e64 v7, -v7, v7, s[10:11]
	v_cndmask_b32_e64 v6, -v6, v6, s[10:11]
	v_pk_add_f32 v[10:11], v[34:35], v[32:33]
	ds_bpermute_b32 v12, v42, v10
	ds_bpermute_b32 v13, v42, v11
	s_waitcnt lgkmcnt(2)
	v_pk_add_f32 v[6:7], v[6:7], v[8:9]
	v_pk_add_f32 v[8:9], v[38:39], v[36:37]
	ds_write_b128 v40, v[4:7] offset:8192
	v_cndmask_b32_e64 v5, -v11, v11, s[12:13]
	v_cndmask_b32_e64 v4, -v10, v10, s[12:13]
	ds_bpermute_b32 v10, v42, v8
	ds_bpermute_b32 v11, v42, v9
	s_waitcnt lgkmcnt(3)
	v_pk_add_f32 v[4:5], v[4:5], v[12:13]
	v_cndmask_b32_e64 v9, -v9, v9, s[12:13]
	v_cndmask_b32_e64 v8, -v8, v8, s[12:13]
	ds_bpermute_b32 v6, v3, v4
	ds_bpermute_b32 v7, v3, v5
	s_waitcnt lgkmcnt(2)
	v_pk_add_f32 v[8:9], v[8:9], v[10:11]
	ds_bpermute_b32 v10, v3, v8
	ds_bpermute_b32 v11, v3, v9
	v_and_b32_e32 v44, 3, v0
	v_lshrrev_b32_e32 v0, 2, v0
	v_cndmask_b32_e64 v5, -v5, v5, s[10:11]
	v_cndmask_b32_e64 v4, -v4, v4, s[10:11]
	v_lshl_or_b32 v0, v44, 6, v0
	s_waitcnt lgkmcnt(2)
	v_pk_add_f32 v[4:5], v[4:5], v[6:7]
	v_cndmask_b32_e64 v7, -v9, v9, s[10:11]
	v_cndmask_b32_e64 v6, -v8, v8, s[10:11]
	v_xor_b32_e32 v0, v0, v44
	s_waitcnt lgkmcnt(0)
	v_pk_add_f32 v[6:7], v[6:7], v[10:11]
	v_lshl_add_u32 v41, v0, 4, 0
	ds_write_b128 v40, v[4:7] offset:12288
	s_waitcnt lgkmcnt(0)
	s_barrier
	ds_read_b128 v[4:7], v41
	ds_read_b128 v[8:11], v41 offset:4096
	ds_read_b128 v[12:15], v41 offset:8192
	;; [unrolled: 1-line block ×3, first 2 shown]
	s_waitcnt lgkmcnt(0)
	ds_bpermute_b32 v20, v2, v4
	ds_bpermute_b32 v21, v2, v5
	;; [unrolled: 1-line block ×16, first 2 shown]
	v_cndmask_b32_e64 v3, -v5, v5, s[14:15]
	v_cndmask_b32_e64 v2, -v4, v4, s[14:15]
	;; [unrolled: 1-line block ×4, first 2 shown]
	s_waitcnt lgkmcnt(12)
	v_pk_add_f32 v[4:5], v[4:5], v[22:23]
	v_pk_add_f32 v[2:3], v[2:3], v[20:21]
	ds_bpermute_b32 v6, v1, v2
	ds_bpermute_b32 v7, v1, v3
	ds_bpermute_b32 v20, v1, v4
	ds_bpermute_b32 v21, v1, v5
	v_cndmask_b32_e64 v3, -v3, v3, s[8:9]
	v_cndmask_b32_e64 v2, -v2, v2, s[8:9]
	v_cndmask_b32_e64 v5, -v5, v5, s[8:9]
	v_cndmask_b32_e64 v4, -v4, v4, s[8:9]
	s_waitcnt lgkmcnt(0)
	v_pk_add_f32 v[4:5], v[4:5], v[20:21]
	v_pk_add_f32 v[2:3], v[2:3], v[6:7]
	s_barrier
	ds_write_b128 v41, v[2:5]
	v_cndmask_b32_e64 v3, -v9, v9, s[14:15]
	v_cndmask_b32_e64 v2, -v8, v8, s[14:15]
	v_cndmask_b32_e64 v5, -v11, v11, s[14:15]
	v_cndmask_b32_e64 v4, -v10, v10, s[14:15]
	v_pk_add_f32 v[4:5], v[4:5], v[30:31]
	v_pk_add_f32 v[2:3], v[2:3], v[28:29]
	ds_bpermute_b32 v6, v1, v2
	ds_bpermute_b32 v7, v1, v3
	ds_bpermute_b32 v8, v1, v4
	ds_bpermute_b32 v9, v1, v5
	v_cndmask_b32_e64 v3, -v3, v3, s[8:9]
	v_cndmask_b32_e64 v2, -v2, v2, s[8:9]
	v_cndmask_b32_e64 v5, -v5, v5, s[8:9]
	v_cndmask_b32_e64 v4, -v4, v4, s[8:9]
	s_waitcnt lgkmcnt(0)
	v_pk_add_f32 v[4:5], v[4:5], v[8:9]
	v_pk_add_f32 v[2:3], v[2:3], v[6:7]
	ds_write_b128 v41, v[2:5] offset:4096
	v_cndmask_b32_e64 v3, -v13, v13, s[14:15]
	v_cndmask_b32_e64 v2, -v12, v12, s[14:15]
	v_cndmask_b32_e64 v5, -v15, v15, s[14:15]
	v_cndmask_b32_e64 v4, -v14, v14, s[14:15]
	v_pk_add_f32 v[4:5], v[4:5], v[34:35]
	v_pk_add_f32 v[2:3], v[2:3], v[32:33]
	ds_bpermute_b32 v6, v1, v2
	ds_bpermute_b32 v7, v1, v3
	ds_bpermute_b32 v8, v1, v4
	ds_bpermute_b32 v9, v1, v5
	v_cndmask_b32_e64 v3, -v3, v3, s[8:9]
	v_cndmask_b32_e64 v2, -v2, v2, s[8:9]
	v_cndmask_b32_e64 v5, -v5, v5, s[8:9]
	v_cndmask_b32_e64 v4, -v4, v4, s[8:9]
	s_waitcnt lgkmcnt(0)
	v_pk_add_f32 v[4:5], v[4:5], v[8:9]
	v_pk_add_f32 v[2:3], v[2:3], v[6:7]
	ds_write_b128 v41, v[2:5] offset:8192
	;; [unrolled: 18-line block ×3, first 2 shown]
	s_waitcnt lgkmcnt(0)
	s_barrier
	ds_read_b128 v[0:3], v40
	ds_read_b128 v[4:7], v40 offset:4096
	ds_read_b128 v[8:11], v40 offset:8192
	;; [unrolled: 1-line block ×3, first 2 shown]
	s_mul_i32 s7, s18, s7
	s_mul_hi_u32 s8, s18, s6
	s_add_i32 s7, s8, s7
	s_mul_i32 s8, s19, s6
	s_add_i32 s7, s7, s8
	s_mul_i32 s6, s18, s6
	s_lshl_b64 s[6:7], s[6:7], 2
	s_add_u32 s6, s22, s6
	s_waitcnt lgkmcnt(2)
	v_pk_add_f32 v[16:17], v[0:1], v[4:5]
	s_waitcnt lgkmcnt(0)
	v_pk_add_f32 v[18:19], v[8:9], v[12:13]
	v_pk_add_f32 v[20:21], v[2:3], v[6:7]
	;; [unrolled: 1-line block ×3, first 2 shown]
	s_addc_u32 s7, s23, s7
	s_mov_b32 s17, s16
	s_and_saveexec_b64 s[8:9], vcc
	s_cbranch_execz .LBB9_10
; %bb.9:
	v_pk_add_f32 v[28:29], v[16:17], v[18:19]
	v_pk_add_f32 v[30:31], v[20:21], v[22:23]
	v_pk_mul_f32 v[28:29], s[16:17], v[28:29]
	v_pk_mul_f32 v[30:31], s[16:17], v[30:31]
	global_store_dwordx4 v24, v[28:31], s[6:7]
.LBB9_10:
	s_or_b64 exec, exec, s[8:9]
	v_pk_add_f32 v[0:1], v[0:1], v[4:5] neg_lo:[0,1] neg_hi:[0,1]
	v_pk_add_f32 v[4:5], v[8:9], v[12:13] neg_lo:[0,1] neg_hi:[0,1]
	;; [unrolled: 1-line block ×4, first 2 shown]
	s_and_saveexec_b64 s[8:9], s[0:1]
	s_cbranch_execnz .LBB9_14
; %bb.11:
	s_or_b64 exec, exec, s[8:9]
	s_and_saveexec_b64 s[0:1], s[2:3]
	s_cbranch_execnz .LBB9_15
.LBB9_12:
	s_or_b64 exec, exec, s[0:1]
	s_and_saveexec_b64 s[0:1], s[4:5]
	s_cbranch_execnz .LBB9_16
.LBB9_13:
	s_endpgm
.LBB9_14:
	v_pk_add_f32 v[8:9], v[0:1], v[4:5]
	v_pk_add_f32 v[10:11], v[2:3], v[6:7]
	v_pk_mul_f32 v[8:9], s[16:17], v[8:9]
	v_pk_mul_f32 v[10:11], s[16:17], v[10:11]
	global_store_dwordx4 v25, v[8:11], s[6:7]
	s_or_b64 exec, exec, s[8:9]
	s_and_saveexec_b64 s[0:1], s[2:3]
	s_cbranch_execz .LBB9_12
.LBB9_15:
	v_pk_add_f32 v[8:9], v[16:17], v[18:19] neg_lo:[0,1] neg_hi:[0,1]
	v_pk_add_f32 v[10:11], v[20:21], v[22:23] neg_lo:[0,1] neg_hi:[0,1]
	v_pk_mul_f32 v[8:9], s[16:17], v[8:9]
	v_pk_mul_f32 v[10:11], s[16:17], v[10:11]
	global_store_dwordx4 v26, v[8:11], s[6:7]
	s_or_b64 exec, exec, s[0:1]
	s_and_saveexec_b64 s[0:1], s[4:5]
	s_cbranch_execz .LBB9_13
.LBB9_16:
	v_pk_add_f32 v[0:1], v[0:1], v[4:5] neg_lo:[0,1] neg_hi:[0,1]
	v_pk_add_f32 v[2:3], v[2:3], v[6:7] neg_lo:[0,1] neg_hi:[0,1]
	v_pk_mul_f32 v[0:1], s[16:17], v[0:1]
	v_pk_mul_f32 v[2:3], s[16:17], v[2:3]
	global_store_dwordx4 v27, v[0:3], s[6:7]
	s_endpgm
	.section	.rodata,"a",@progbits
	.p2align	6, 0x0
	.amdhsa_kernel _Z30fast_hadamard_transform_kernelI37fast_hadamard_transform_kernel_traitsILi256ELi12EfEEv18HadamardParamsBase
		.amdhsa_group_segment_fixed_size 0
		.amdhsa_private_segment_fixed_size 0
		.amdhsa_kernarg_size 312
		.amdhsa_user_sgpr_count 6
		.amdhsa_user_sgpr_private_segment_buffer 1
		.amdhsa_user_sgpr_dispatch_ptr 0
		.amdhsa_user_sgpr_queue_ptr 0
		.amdhsa_user_sgpr_kernarg_segment_ptr 1
		.amdhsa_user_sgpr_dispatch_id 0
		.amdhsa_user_sgpr_flat_scratch_init 0
		.amdhsa_user_sgpr_kernarg_preload_length 0
		.amdhsa_user_sgpr_kernarg_preload_offset 0
		.amdhsa_user_sgpr_private_segment_size 0
		.amdhsa_uses_dynamic_stack 0
		.amdhsa_system_sgpr_private_segment_wavefront_offset 0
		.amdhsa_system_sgpr_workgroup_id_x 1
		.amdhsa_system_sgpr_workgroup_id_y 0
		.amdhsa_system_sgpr_workgroup_id_z 0
		.amdhsa_system_sgpr_workgroup_info 0
		.amdhsa_system_vgpr_workitem_id 0
		.amdhsa_next_free_vgpr 45
		.amdhsa_next_free_sgpr 24
		.amdhsa_accum_offset 48
		.amdhsa_reserve_vcc 1
		.amdhsa_reserve_flat_scratch 0
		.amdhsa_float_round_mode_32 0
		.amdhsa_float_round_mode_16_64 0
		.amdhsa_float_denorm_mode_32 3
		.amdhsa_float_denorm_mode_16_64 3
		.amdhsa_dx10_clamp 1
		.amdhsa_ieee_mode 1
		.amdhsa_fp16_overflow 0
		.amdhsa_tg_split 0
		.amdhsa_exception_fp_ieee_invalid_op 0
		.amdhsa_exception_fp_denorm_src 0
		.amdhsa_exception_fp_ieee_div_zero 0
		.amdhsa_exception_fp_ieee_overflow 0
		.amdhsa_exception_fp_ieee_underflow 0
		.amdhsa_exception_fp_ieee_inexact 0
		.amdhsa_exception_int_div_zero 0
	.end_amdhsa_kernel
	.section	.text._Z30fast_hadamard_transform_kernelI37fast_hadamard_transform_kernel_traitsILi256ELi12EfEEv18HadamardParamsBase,"axG",@progbits,_Z30fast_hadamard_transform_kernelI37fast_hadamard_transform_kernel_traitsILi256ELi12EfEEv18HadamardParamsBase,comdat
.Lfunc_end9:
	.size	_Z30fast_hadamard_transform_kernelI37fast_hadamard_transform_kernel_traitsILi256ELi12EfEEv18HadamardParamsBase, .Lfunc_end9-_Z30fast_hadamard_transform_kernelI37fast_hadamard_transform_kernel_traitsILi256ELi12EfEEv18HadamardParamsBase
                                        ; -- End function
	.section	.AMDGPU.csdata,"",@progbits
; Kernel info:
; codeLenInByte = 4216
; NumSgprs: 28
; NumVgprs: 45
; NumAgprs: 0
; TotalNumVgprs: 45
; ScratchSize: 0
; MemoryBound: 0
; FloatMode: 240
; IeeeMode: 1
; LDSByteSize: 0 bytes/workgroup (compile time only)
; SGPRBlocks: 3
; VGPRBlocks: 5
; NumSGPRsForWavesPerEU: 28
; NumVGPRsForWavesPerEU: 45
; AccumOffset: 48
; Occupancy: 8
; WaveLimiterHint : 0
; COMPUTE_PGM_RSRC2:SCRATCH_EN: 0
; COMPUTE_PGM_RSRC2:USER_SGPR: 6
; COMPUTE_PGM_RSRC2:TRAP_HANDLER: 0
; COMPUTE_PGM_RSRC2:TGID_X_EN: 1
; COMPUTE_PGM_RSRC2:TGID_Y_EN: 0
; COMPUTE_PGM_RSRC2:TGID_Z_EN: 0
; COMPUTE_PGM_RSRC2:TIDIG_COMP_CNT: 0
; COMPUTE_PGM_RSRC3_GFX90A:ACCUM_OFFSET: 11
; COMPUTE_PGM_RSRC3_GFX90A:TG_SPLIT: 0
	.section	.text._Z30fast_hadamard_transform_kernelI37fast_hadamard_transform_kernel_traitsILi256ELi13EfEEv18HadamardParamsBase,"axG",@progbits,_Z30fast_hadamard_transform_kernelI37fast_hadamard_transform_kernel_traitsILi256ELi13EfEEv18HadamardParamsBase,comdat
	.protected	_Z30fast_hadamard_transform_kernelI37fast_hadamard_transform_kernel_traitsILi256ELi13EfEEv18HadamardParamsBase ; -- Begin function _Z30fast_hadamard_transform_kernelI37fast_hadamard_transform_kernel_traitsILi256ELi13EfEEv18HadamardParamsBase
	.globl	_Z30fast_hadamard_transform_kernelI37fast_hadamard_transform_kernel_traitsILi256ELi13EfEEv18HadamardParamsBase
	.p2align	8
	.type	_Z30fast_hadamard_transform_kernelI37fast_hadamard_transform_kernel_traitsILi256ELi13EfEEv18HadamardParamsBase,@function
_Z30fast_hadamard_transform_kernelI37fast_hadamard_transform_kernel_traitsILi256ELi13EfEEv18HadamardParamsBase: ; @_Z30fast_hadamard_transform_kernelI37fast_hadamard_transform_kernel_traitsILi256ELi13EfEEv18HadamardParamsBase
; %bb.0:
	s_load_dwordx4 s[28:31], s[4:5], 0x10
	s_load_dword s12, s[4:5], 0x4
	s_ashr_i32 s7, s6, 31
	s_load_dwordx4 s[36:39], s[4:5], 0x28
	s_load_dword s8, s[4:5], 0x44
	s_waitcnt lgkmcnt(0)
	s_mul_hi_u32 s0, s28, s6
	s_mul_i32 s1, s28, s7
	s_add_i32 s0, s0, s1
	s_mul_i32 s1, s29, s6
	s_add_i32 s1, s0, s1
	s_mul_i32 s0, s28, s6
	s_lshl_b64 s[0:1], s[0:1], 2
	s_add_u32 s14, s36, s0
	v_lshlrev_b32_e32 v1, 2, v0
	s_addc_u32 s15, s37, s1
	v_cmp_gt_u32_e64 s[0:1], s12, v1
	v_mov_b32_e32 v32, 0
	v_lshlrev_b32_e32 v56, 4, v0
	v_mov_b32_e32 v34, 0
	v_mov_b32_e32 v35, 0
	;; [unrolled: 1-line block ×4, first 2 shown]
	s_and_saveexec_b64 s[2:3], s[0:1]
	s_cbranch_execz .LBB10_2
; %bb.1:
	global_load_dwordx4 v[2:5], v56, s[14:15]
	s_waitcnt vmcnt(0)
	v_mov_b32_e32 v34, v2
	v_mov_b32_e32 v35, v4
	v_mov_b32_e32 v4, v3
.LBB10_2:
	s_or_b64 exec, exec, s[2:3]
	s_and_b32 s13, 0xffff, s8
	v_add_u32_e32 v1, s13, v0
	v_lshlrev_b32_e32 v2, 2, v1
	v_cmp_gt_u32_e32 vcc, s12, v2
	v_lshlrev_b32_e32 v62, 4, v1
	v_mov_b32_e32 v33, 0
	v_mov_b32_e32 v8, 0
	;; [unrolled: 1-line block ×3, first 2 shown]
	s_and_saveexec_b64 s[2:3], vcc
	s_cbranch_execz .LBB10_4
; %bb.3:
	global_load_dwordx4 v[6:9], v62, s[14:15]
	s_waitcnt vmcnt(0)
	v_mov_b32_e32 v32, v6
	v_mov_b32_e32 v33, v8
	v_mov_b32_e32 v8, v7
.LBB10_4:
	s_or_b64 exec, exec, s[2:3]
	v_add_u32_e32 v1, s13, v1
	v_lshlrev_b32_e32 v2, 2, v1
	v_cmp_gt_u32_e64 s[2:3], s12, v2
	v_mov_b32_e32 v2, 0
	v_lshlrev_b32_e32 v63, 4, v1
	v_mov_b32_e32 v6, 0
	v_mov_b32_e32 v7, 0
	;; [unrolled: 1-line block ×4, first 2 shown]
	s_and_saveexec_b64 s[8:9], s[2:3]
	s_cbranch_execz .LBB10_6
; %bb.5:
	global_load_dwordx4 v[10:13], v63, s[14:15]
	s_waitcnt vmcnt(0)
	v_mov_b32_e32 v6, v10
	v_mov_b32_e32 v7, v12
	;; [unrolled: 1-line block ×3, first 2 shown]
.LBB10_6:
	s_or_b64 exec, exec, s[8:9]
	v_add_u32_e32 v1, s13, v1
	v_lshlrev_b32_e32 v3, 2, v1
	v_cmp_gt_u32_e64 s[24:25], s12, v3
	v_lshlrev_b32_e32 v64, 4, v1
	v_mov_b32_e32 v3, 0
	v_mov_b32_e32 v16, 0
	;; [unrolled: 1-line block ×3, first 2 shown]
	s_and_saveexec_b64 s[8:9], s[24:25]
	s_cbranch_execz .LBB10_8
; %bb.7:
	global_load_dwordx4 v[14:17], v64, s[14:15]
	s_waitcnt vmcnt(0)
	v_mov_b32_e32 v2, v14
	v_mov_b32_e32 v3, v16
	;; [unrolled: 1-line block ×3, first 2 shown]
.LBB10_8:
	s_or_b64 exec, exec, s[8:9]
	v_add_u32_e32 v1, s13, v1
	v_lshlrev_b32_e32 v10, 2, v1
	v_cmp_gt_u32_e64 s[26:27], s12, v10
	v_mov_b32_e32 v10, 0
	v_lshlrev_b32_e32 v65, 4, v1
	v_mov_b32_e32 v14, 0
	v_mov_b32_e32 v15, 0
	;; [unrolled: 1-line block ×4, first 2 shown]
	s_and_saveexec_b64 s[8:9], s[26:27]
	s_cbranch_execz .LBB10_10
; %bb.9:
	global_load_dwordx4 v[18:21], v65, s[14:15]
	s_waitcnt vmcnt(0)
	v_mov_b32_e32 v14, v18
	v_mov_b32_e32 v15, v20
	;; [unrolled: 1-line block ×3, first 2 shown]
.LBB10_10:
	s_or_b64 exec, exec, s[8:9]
	v_add_u32_e32 v1, s13, v1
	v_lshlrev_b32_e32 v11, 2, v1
	v_cmp_gt_u32_e64 s[8:9], s12, v11
	v_lshlrev_b32_e32 v66, 4, v1
	v_mov_b32_e32 v11, 0
	v_mov_b32_e32 v24, 0
	;; [unrolled: 1-line block ×3, first 2 shown]
	s_and_saveexec_b64 s[10:11], s[8:9]
	s_cbranch_execz .LBB10_12
; %bb.11:
	global_load_dwordx4 v[22:25], v66, s[14:15]
	s_waitcnt vmcnt(0)
	v_mov_b32_e32 v10, v22
	v_mov_b32_e32 v11, v24
	;; [unrolled: 1-line block ×3, first 2 shown]
.LBB10_12:
	s_or_b64 exec, exec, s[10:11]
	s_load_dwordx2 s[28:29], s[4:5], 0x20
	v_add_u32_e32 v1, s13, v1
	v_lshlrev_b32_e32 v18, 2, v1
	v_cmp_gt_u32_e64 s[10:11], s12, v18
	v_mov_b32_e32 v26, 0
	v_lshlrev_b32_e32 v67, 4, v1
	v_mov_b32_e32 v18, 0
	v_mov_b32_e32 v19, 0
	;; [unrolled: 1-line block ×4, first 2 shown]
	s_and_saveexec_b64 s[4:5], s[10:11]
	s_cbranch_execz .LBB10_14
; %bb.13:
	global_load_dwordx4 v[28:31], v67, s[14:15]
	s_waitcnt vmcnt(0)
	v_mov_b32_e32 v18, v28
	v_mov_b32_e32 v19, v30
	v_mov_b32_e32 v30, v29
.LBB10_14:
	s_or_b64 exec, exec, s[4:5]
	v_add_u32_e32 v1, s13, v1
	v_lshlrev_b32_e32 v22, 2, v1
	v_cmp_gt_u32_e64 s[12:13], s12, v22
	v_lshlrev_b32_e32 v68, 4, v1
	v_mov_b32_e32 v22, 0
	v_mov_b32_e32 v27, 0
	;; [unrolled: 1-line block ×3, first 2 shown]
	s_and_saveexec_b64 s[4:5], s[12:13]
	s_cbranch_execz .LBB10_16
; %bb.15:
	global_load_dwordx4 v[26:29], v68, s[14:15]
	s_waitcnt vmcnt(0)
	v_mov_b32_e32 v22, v27
	v_mov_b32_e32 v27, v28
	;; [unrolled: 1-line block ×3, first 2 shown]
.LBB10_16:
	s_or_b64 exec, exec, s[4:5]
	v_pk_add_f32 v[28:29], v[34:35], v[4:5] neg_lo:[0,1] neg_hi:[0,1]
	v_pk_add_f32 v[4:5], v[34:35], v[4:5]
	v_pk_add_f32 v[36:37], v[32:33], v[8:9] neg_lo:[0,1] neg_hi:[0,1]
	v_pk_add_f32 v[34:35], v[6:7], v[12:13] neg_lo:[0,1] neg_hi:[0,1]
	;; [unrolled: 1-line block ×3, first 2 shown]
	v_pk_add_f32 v[8:9], v[32:33], v[8:9]
	v_pk_add_f32 v[32:33], v[14:15], v[20:21] neg_lo:[0,1] neg_hi:[0,1]
	v_pk_add_f32 v[6:7], v[6:7], v[12:13]
	v_pk_add_f32 v[12:13], v[18:19], v[30:31] neg_lo:[0,1] neg_hi:[0,1]
	v_pk_add_f32 v[2:3], v[2:3], v[16:17]
	v_pk_add_f32 v[14:15], v[14:15], v[20:21]
	;; [unrolled: 1-line block ×4, first 2 shown]
	v_pk_add_f32 v[20:21], v[26:27], v[22:23] neg_lo:[0,1] neg_hi:[0,1]
	v_mov_b32_e32 v22, v5
	v_pk_add_f32 v[40:41], v[10:11], v[24:25] neg_lo:[0,1] neg_hi:[0,1]
	v_pk_add_f32 v[10:11], v[10:11], v[24:25]
	v_pk_add_f32 v[24:25], v[4:5], v[22:23]
	v_pk_add_f32 v[4:5], v[4:5], v[22:23] neg_lo:[0,1] neg_hi:[0,1]
	v_mov_b32_e32 v22, v9
	v_pk_add_f32 v[26:27], v[8:9], v[22:23]
	v_pk_add_f32 v[8:9], v[8:9], v[22:23] neg_lo:[0,1] neg_hi:[0,1]
	v_mov_b32_e32 v22, v7
	;; [unrolled: 3-line block ×12, first 2 shown]
	v_and_b32_e32 v1, 1, v0
	v_pk_add_f32 v[70:71], v[32:33], v[6:7]
	v_pk_add_f32 v[32:33], v[32:33], v[6:7] neg_lo:[0,1] neg_hi:[0,1]
	v_mov_b32_e32 v6, v41
	v_cmp_eq_u32_e64 s[14:15], 0, v1
	v_mbcnt_lo_u32_b32 v1, -1, 0
	v_pk_add_f32 v[72:73], v[40:41], v[6:7]
	v_pk_add_f32 v[40:41], v[40:41], v[6:7] neg_lo:[0,1] neg_hi:[0,1]
	v_mov_b32_e32 v6, v13
	v_mbcnt_hi_u32_b32 v1, -1, v1
	v_pk_add_f32 v[74:75], v[12:13], v[6:7]
	v_pk_add_f32 v[12:13], v[12:13], v[6:7] neg_lo:[0,1] neg_hi:[0,1]
	v_mov_b32_e32 v6, v21
	v_and_b32_e32 v3, 64, v1
	v_pk_add_f32 v[76:77], v[20:21], v[6:7]
	v_pk_add_f32 v[20:21], v[20:21], v[6:7] neg_lo:[0,1] neg_hi:[0,1]
	v_add_u32_e32 v6, 64, v3
	v_xor_b32_e32 v3, 1, v1
	v_cmp_lt_i32_e64 s[4:5], v3, v6
	v_cndmask_b32_e64 v3, v1, v3, s[4:5]
	v_lshlrev_b32_e32 v23, 2, v3
	ds_bpermute_b32 v3, v23, v24
	v_cndmask_b32_e64 v5, -v24, v24, s[14:15]
	ds_bpermute_b32 v9, v23, v4
	v_cndmask_b32_e64 v7, -v52, v52, s[14:15]
	v_cndmask_b32_e64 v4, -v4, v4, s[14:15]
	s_waitcnt lgkmcnt(0)
	v_add_f32_e32 v3, v5, v3
	ds_bpermute_b32 v5, v23, v52
	v_add_f32_e32 v4, v4, v9
	ds_bpermute_b32 v9, v23, v26
	v_cndmask_b32_e64 v11, -v28, v28, s[14:15]
	v_cndmask_b32_e64 v13, -v26, v26, s[14:15]
	s_waitcnt lgkmcnt(1)
	v_add_f32_e32 v5, v7, v5
	ds_bpermute_b32 v7, v23, v28
	s_waitcnt lgkmcnt(1)
	v_add_f32_e32 v9, v13, v9
	ds_bpermute_b32 v13, v23, v8
	v_cndmask_b32_e64 v15, -v54, v54, s[14:15]
	v_cndmask_b32_e64 v8, -v8, v8, s[14:15]
	s_waitcnt lgkmcnt(1)
	v_add_f32_e32 v7, v11, v7
	ds_bpermute_b32 v11, v23, v54
	s_waitcnt lgkmcnt(1)
	;; [unrolled: 8-line block ×12, first 2 shown]
	v_add_f32_e32 v16, v16, v22
	ds_bpermute_b32 v22, v23, v50
	ds_bpermute_b32 v36, v23, v76
	;; [unrolled: 1-line block ×3, first 2 shown]
	s_waitcnt lgkmcnt(3)
	v_add_f32_e32 v33, v35, v33
	ds_bpermute_b32 v35, v23, v12
	v_cndmask_b32_e64 v12, -v12, v12, s[14:15]
	v_cndmask_b32_e64 v37, -v76, v76, s[14:15]
	s_waitcnt lgkmcnt(2)
	v_add_f32_e32 v36, v37, v36
	v_cndmask_b32_e64 v20, -v20, v20, s[14:15]
	s_waitcnt lgkmcnt(0)
	v_add_f32_e32 v12, v12, v35
	v_cndmask_b32_e64 v35, -v50, v50, s[14:15]
	v_add_f32_e32 v35, v35, v22
	ds_bpermute_b32 v22, v23, v18
	v_cndmask_b32_e64 v18, -v18, v18, s[14:15]
	v_add_f32_e32 v20, v20, v38
	v_and_b32_e32 v38, 2, v0
	v_cmp_eq_u32_e64 s[16:17], 0, v38
	s_waitcnt lgkmcnt(0)
	v_add_f32_e32 v18, v18, v22
	v_xor_b32_e32 v22, 2, v1
	v_cmp_lt_i32_e64 s[4:5], v22, v6
	v_cndmask_b32_e64 v22, v1, v22, s[4:5]
	v_lshlrev_b32_e32 v22, 2, v22
	ds_bpermute_b32 v37, v22, v3
	v_cndmask_b32_e64 v3, -v3, v3, s[16:17]
	ds_bpermute_b32 v38, v22, v7
	v_cndmask_b32_e64 v7, -v7, v7, s[16:17]
	ds_bpermute_b32 v39, v22, v5
	s_waitcnt lgkmcnt(2)
	v_add_f32_e32 v3, v3, v37
	ds_bpermute_b32 v37, v22, v4
	v_cndmask_b32_e64 v4, -v4, v4, s[16:17]
	s_waitcnt lgkmcnt(2)
	v_add_f32_e32 v7, v7, v38
	ds_bpermute_b32 v38, v22, v11
	v_cndmask_b32_e64 v11, -v11, v11, s[16:17]
	;; [unrolled: 4-line block ×27, first 2 shown]
	v_add_f32_e32 v5, v5, v39
	ds_bpermute_b32 v39, v22, v20
	v_cndmask_b32_e64 v36, -v36, v36, s[16:17]
	s_waitcnt lgkmcnt(1)
	v_add_f32_e32 v35, v35, v37
	ds_bpermute_b32 v37, v22, v18
	v_cndmask_b32_e64 v18, -v18, v18, s[16:17]
	v_add_f32_e32 v36, v36, v38
	v_cndmask_b32_e64 v20, -v20, v20, s[16:17]
	s_waitcnt lgkmcnt(1)
	v_add_f32_e32 v20, v20, v39
	s_waitcnt lgkmcnt(0)
	v_add_f32_e32 v18, v18, v37
	v_xor_b32_e32 v37, 4, v1
	v_cmp_lt_i32_e64 s[4:5], v37, v6
	v_cndmask_b32_e64 v37, v1, v37, s[4:5]
	v_lshlrev_b32_e32 v37, 2, v37
	ds_bpermute_b32 v38, v37, v3
	v_and_b32_e32 v39, 4, v0
	v_cmp_eq_u32_e64 s[4:5], 0, v39
	v_cndmask_b32_e64 v3, -v3, v3, s[4:5]
	ds_bpermute_b32 v39, v37, v7
	s_waitcnt lgkmcnt(1)
	v_add_f32_e32 v3, v3, v38
	ds_bpermute_b32 v38, v37, v4
	v_cndmask_b32_e64 v4, -v4, v4, s[4:5]
	v_cndmask_b32_e64 v7, -v7, v7, s[4:5]
	s_waitcnt lgkmcnt(1)
	v_add_f32_e32 v7, v7, v39
	ds_bpermute_b32 v39, v37, v11
	s_waitcnt lgkmcnt(1)
	v_add_f32_e32 v4, v4, v38
	ds_bpermute_b32 v38, v37, v9
	v_cndmask_b32_e64 v9, -v9, v9, s[4:5]
	ds_bpermute_b32 v40, v37, v5
	v_cndmask_b32_e64 v11, -v11, v11, s[4:5]
	v_cndmask_b32_e64 v5, -v5, v5, s[4:5]
	s_waitcnt lgkmcnt(1)
	v_add_f32_e32 v38, v9, v38
	ds_bpermute_b32 v9, v37, v8
	v_add_f32_e32 v39, v11, v39
	ds_bpermute_b32 v11, v37, v15
	v_cndmask_b32_e64 v8, -v8, v8, s[4:5]
	s_waitcnt lgkmcnt(2)
	v_add_f32_e32 v5, v5, v40
	s_waitcnt lgkmcnt(1)
	v_add_f32_e32 v40, v8, v9
	ds_bpermute_b32 v8, v37, v13
	v_cndmask_b32_e64 v9, -v15, v15, s[4:5]
	s_waitcnt lgkmcnt(1)
	v_add_f32_e32 v15, v9, v11
	ds_bpermute_b32 v9, v37, v17
	v_cndmask_b32_e64 v11, -v13, v13, s[4:5]
	;; [unrolled: 4-line block ×21, first 2 shown]
	s_waitcnt lgkmcnt(1)
	v_add_f32_e32 v57, v9, v8
	v_cndmask_b32_e64 v8, -v35, v35, s[4:5]
	ds_bpermute_b32 v9, v37, v36
	s_waitcnt lgkmcnt(1)
	v_add_f32_e32 v58, v8, v2
	ds_bpermute_b32 v2, v37, v18
	v_cndmask_b32_e64 v8, -v36, v36, s[4:5]
	ds_bpermute_b32 v10, v37, v20
	s_waitcnt lgkmcnt(2)
	v_add_f32_e32 v59, v8, v9
	v_cndmask_b32_e64 v8, -v18, v18, s[4:5]
	s_waitcnt lgkmcnt(1)
	v_add_f32_e32 v60, v8, v2
	v_xor_b32_e32 v8, 8, v1
	v_cndmask_b32_e64 v2, -v20, v20, s[4:5]
	v_cmp_lt_i32_e64 s[4:5], v8, v6
	v_cndmask_b32_e64 v8, v1, v8, s[4:5]
	v_lshlrev_b32_e32 v69, 2, v8
	ds_bpermute_b32 v8, v69, v3
	ds_bpermute_b32 v9, v69, v5
	s_waitcnt lgkmcnt(2)
	v_add_f32_e32 v61, v2, v10
	v_and_b32_e32 v2, 8, v0
	v_xor_b32_e32 v20, 16, v1
	v_cmp_eq_u32_e64 s[22:23], 0, v2
	v_cmp_lt_i32_e64 s[4:5], v20, v6
	v_cndmask_b32_e64 v10, -v3, v3, s[22:23]
	v_cndmask_b32_e64 v11, -v5, v5, s[22:23]
	v_cndmask_b32_e64 v20, v1, v20, s[4:5]
	v_lshlrev_b32_e32 v24, 2, v20
	s_waitcnt lgkmcnt(0)
	v_pk_add_f32 v[8:9], v[10:11], v[8:9]
	ds_bpermute_b32 v12, v69, v4
	ds_bpermute_b32 v13, v69, v7
	;; [unrolled: 1-line block ×4, first 2 shown]
	v_cndmask_b32_e64 v19, -v7, v7, s[22:23]
	v_and_b32_e32 v7, 16, v0
	v_cmp_eq_u32_e64 s[18:19], 0, v7
	v_xor_b32_e32 v7, 32, v1
	v_cndmask_b32_e64 v18, -v4, v4, s[22:23]
	v_cndmask_b32_e64 v9, -v9, v9, s[18:19]
	;; [unrolled: 1-line block ×3, first 2 shown]
	v_cmp_lt_i32_e64 s[4:5], v7, v6
	v_cndmask_b32_e64 v1, v1, v7, s[4:5]
	s_waitcnt lgkmcnt(0)
	v_pk_add_f32 v[6:7], v[8:9], v[10:11]
	v_pk_add_f32 v[10:11], v[18:19], v[12:13]
	ds_bpermute_b32 v12, v24, v10
	ds_bpermute_b32 v13, v24, v11
	v_cndmask_b32_e64 v11, -v11, v11, s[18:19]
	v_cndmask_b32_e64 v10, -v10, v10, s[18:19]
	v_lshlrev_b32_e32 v1, 2, v1
	ds_bpermute_b32 v8, v1, v6
	s_waitcnt lgkmcnt(1)
	v_pk_add_f32 v[10:11], v[10:11], v[12:13]
	ds_bpermute_b32 v9, v1, v7
	ds_bpermute_b32 v12, v1, v10
	ds_bpermute_b32 v13, v1, v11
	v_and_b32_e32 v20, 32, v0
	ds_bpermute_b32 v26, v69, v38
	ds_bpermute_b32 v27, v69, v39
	ds_bpermute_b32 v32, v69, v40
	ds_bpermute_b32 v33, v69, v15
	v_cmp_eq_u32_e64 s[20:21], 0, v20
	v_cndmask_b32_e64 v7, -v7, v7, s[20:21]
	v_cndmask_b32_e64 v6, -v6, v6, s[20:21]
	;; [unrolled: 1-line block ×4, first 2 shown]
	s_waitcnt lgkmcnt(6)
	v_pk_add_f32 v[6:7], v[6:7], v[8:9]
	s_waitcnt lgkmcnt(4)
	v_pk_add_f32 v[8:9], v[10:11], v[12:13]
	v_lshrrev_b32_e32 v10, 6, v0
	v_xor_b32_e32 v10, v10, v0
	v_cndmask_b32_e64 v30, -v38, v38, s[22:23]
	v_cndmask_b32_e64 v31, -v39, v39, s[22:23]
	;; [unrolled: 1-line block ×4, first 2 shown]
	ds_bpermute_b32 v2, v69, v42
	v_cndmask_b32_e64 v4, -v42, v42, s[22:23]
	ds_bpermute_b32 v40, v69, v44
	v_cndmask_b32_e64 v42, -v44, v44, s[22:23]
	;; [unrolled: 2-line block ×3, first 2 shown]
	v_lshl_add_u32 v28, v10, 4, 0
	ds_bpermute_b32 v14, v69, v41
	ds_bpermute_b32 v15, v69, v17
	;; [unrolled: 1-line block ×3, first 2 shown]
	s_waitcnt lgkmcnt(0)
	s_barrier
	ds_write_b128 v28, v[6:9]
	v_pk_add_f32 v[6:7], v[30:31], v[26:27]
	v_pk_add_f32 v[10:11], v[34:35], v[32:33]
	ds_bpermute_b32 v8, v24, v6
	ds_bpermute_b32 v9, v24, v7
	;; [unrolled: 1-line block ×4, first 2 shown]
	v_cndmask_b32_e64 v16, -v41, v41, s[22:23]
	v_cndmask_b32_e64 v17, -v17, v17, s[22:23]
	;; [unrolled: 1-line block ×7, first 2 shown]
	v_pk_add_f32 v[14:15], v[16:17], v[14:15]
	v_pk_add_f32 v[2:3], v[4:5], v[2:3]
	s_waitcnt lgkmcnt(2)
	v_pk_add_f32 v[6:7], v[6:7], v[8:9]
	s_waitcnt lgkmcnt(0)
	v_pk_add_f32 v[10:11], v[10:11], v[12:13]
	ds_bpermute_b32 v16, v24, v14
	ds_bpermute_b32 v17, v24, v15
	;; [unrolled: 1-line block ×10, first 2 shown]
	v_cndmask_b32_e64 v15, -v15, v15, s[18:19]
	v_cndmask_b32_e64 v14, -v14, v14, s[18:19]
	v_cndmask_b32_e64 v3, -v3, v3, s[18:19]
	v_cndmask_b32_e64 v2, -v2, v2, s[18:19]
	v_cndmask_b32_e64 v7, -v7, v7, s[20:21]
	v_cndmask_b32_e64 v6, -v6, v6, s[20:21]
	v_cndmask_b32_e64 v11, -v11, v11, s[20:21]
	v_cndmask_b32_e64 v10, -v10, v10, s[20:21]
	s_waitcnt lgkmcnt(8)
	v_pk_add_f32 v[14:15], v[14:15], v[16:17]
	s_waitcnt lgkmcnt(6)
	v_pk_add_f32 v[2:3], v[2:3], v[4:5]
	v_cndmask_b32_e64 v38, -v25, v25, s[22:23]
	v_cndmask_b32_e64 v39, -v43, v43, s[22:23]
	ds_bpermute_b32 v18, v69, v48
	v_cndmask_b32_e64 v20, -v48, v48, s[22:23]
	ds_bpermute_b32 v26, v69, v49
	ds_bpermute_b32 v27, v69, v50
	v_cndmask_b32_e64 v34, -v49, v49, s[22:23]
	v_cndmask_b32_e64 v35, -v50, v50, s[22:23]
	s_waitcnt lgkmcnt(7)
	v_pk_add_f32 v[8:9], v[6:7], v[8:9]
	s_waitcnt lgkmcnt(5)
	v_pk_add_f32 v[10:11], v[10:11], v[12:13]
	ds_bpermute_b32 v48, v69, v51
	v_cndmask_b32_e64 v50, -v51, v51, s[22:23]
	ds_bpermute_b32 v49, v69, v52
	v_cndmask_b32_e64 v51, -v52, v52, s[22:23]
	;; [unrolled: 2-line block ×3, first 2 shown]
	ds_bpermute_b32 v30, v1, v14
	ds_bpermute_b32 v31, v1, v15
	;; [unrolled: 1-line block ×4, first 2 shown]
	s_waitcnt lgkmcnt(10)
	v_pk_add_f32 v[36:37], v[38:39], v[36:37]
	ds_bpermute_b32 v38, v24, v36
	ds_bpermute_b32 v39, v24, v37
	;; [unrolled: 1-line block ×4, first 2 shown]
	v_cndmask_b32_e64 v13, -v54, v54, s[22:23]
	ds_write_b128 v28, v[8:11] offset:4096
	ds_bpermute_b32 v8, v69, v55
	v_cndmask_b32_e64 v10, -v55, v55, s[22:23]
	v_cndmask_b32_e64 v33, -v15, v15, s[20:21]
	;; [unrolled: 1-line block ×5, first 2 shown]
	s_waitcnt lgkmcnt(8)
	v_pk_add_f32 v[30:31], v[32:33], v[30:31]
	s_waitcnt lgkmcnt(6)
	v_pk_add_f32 v[32:33], v[54:55], v[52:53]
	ds_write_b128 v28, v[30:33] offset:8192
	v_cndmask_b32_e64 v31, -v37, v37, s[18:19]
	v_cndmask_b32_e64 v30, -v36, v36, s[18:19]
	;; [unrolled: 1-line block ×3, first 2 shown]
	s_waitcnt lgkmcnt(5)
	v_pk_add_f32 v[30:31], v[30:31], v[38:39]
	ds_bpermute_b32 v32, v1, v30
	ds_bpermute_b32 v33, v1, v31
	s_waitcnt lgkmcnt(6)
	v_pk_add_f32 v[36:37], v[42:43], v[40:41]
	ds_bpermute_b32 v38, v24, v36
	ds_bpermute_b32 v39, v24, v37
	;; [unrolled: 1-line block ×3, first 2 shown]
	v_cndmask_b32_e64 v31, -v31, v31, s[20:21]
	v_cndmask_b32_e64 v30, -v30, v30, s[20:21]
	s_waitcnt lgkmcnt(3)
	v_pk_add_f32 v[30:31], v[30:31], v[32:33]
	v_cndmask_b32_e64 v33, -v37, v37, s[18:19]
	v_cndmask_b32_e64 v32, -v36, v36, s[18:19]
	s_waitcnt lgkmcnt(1)
	v_pk_add_f32 v[32:33], v[32:33], v[38:39]
	v_cndmask_b32_e64 v47, -v47, v47, s[22:23]
	ds_bpermute_b32 v36, v1, v32
	ds_bpermute_b32 v37, v1, v33
	;; [unrolled: 1-line block ×3, first 2 shown]
	s_waitcnt lgkmcnt(3)
	v_pk_add_f32 v[38:39], v[46:47], v[44:45]
	ds_bpermute_b32 v40, v24, v38
	ds_bpermute_b32 v41, v24, v39
	v_cndmask_b32_e64 v33, -v33, v33, s[20:21]
	v_cndmask_b32_e64 v32, -v32, v32, s[20:21]
	;; [unrolled: 1-line block ×3, first 2 shown]
	s_waitcnt lgkmcnt(3)
	v_pk_add_f32 v[32:33], v[32:33], v[36:37]
	ds_write_b128 v28, v[30:33] offset:12288
	v_cndmask_b32_e64 v31, -v39, v39, s[18:19]
	v_cndmask_b32_e64 v30, -v38, v38, s[18:19]
	s_waitcnt lgkmcnt(3)
	v_pk_add_f32 v[20:21], v[20:21], v[18:19]
	s_waitcnt lgkmcnt(1)
	v_pk_add_f32 v[30:31], v[30:31], v[40:41]
	ds_bpermute_b32 v36, v24, v20
	ds_bpermute_b32 v37, v24, v21
	;; [unrolled: 1-line block ×5, first 2 shown]
	v_pk_add_f32 v[6:7], v[12:13], v[6:7]
	ds_bpermute_b32 v12, v24, v6
	ds_bpermute_b32 v13, v24, v7
	v_cndmask_b32_e64 v21, -v21, v21, s[18:19]
	v_cndmask_b32_e64 v20, -v20, v20, s[18:19]
	;; [unrolled: 1-line block ×5, first 2 shown]
	s_waitcnt lgkmcnt(5)
	v_pk_add_f32 v[20:21], v[20:21], v[36:37]
	s_waitcnt lgkmcnt(2)
	v_pk_add_f32 v[18:19], v[30:31], v[32:33]
	ds_bpermute_b32 v30, v1, v20
	ds_bpermute_b32 v31, v1, v21
	v_pk_add_f32 v[8:9], v[10:11], v[8:9]
	v_pk_add_f32 v[26:27], v[34:35], v[26:27]
	v_cndmask_b32_e64 v7, -v7, v7, s[18:19]
	v_cndmask_b32_e64 v6, -v6, v6, s[18:19]
	ds_bpermute_b32 v10, v24, v8
	ds_bpermute_b32 v11, v24, v9
	;; [unrolled: 1-line block ×4, first 2 shown]
	s_waitcnt lgkmcnt(6)
	v_pk_add_f32 v[6:7], v[6:7], v[12:13]
	ds_bpermute_b32 v14, v69, v58
	ds_bpermute_b32 v15, v69, v59
	;; [unrolled: 1-line block ×6, first 2 shown]
	v_cndmask_b32_e64 v21, -v21, v21, s[20:21]
	v_cndmask_b32_e64 v20, -v20, v20, s[20:21]
	s_waitcnt lgkmcnt(10)
	v_pk_add_f32 v[20:21], v[20:21], v[30:31]
	v_cndmask_b32_e64 v9, -v9, v9, s[18:19]
	v_cndmask_b32_e64 v8, -v8, v8, s[18:19]
	ds_write_b128 v28, v[18:21] offset:16384
	v_cndmask_b32_e64 v19, -v27, v27, s[18:19]
	v_cndmask_b32_e64 v18, -v26, v26, s[18:19]
	s_waitcnt lgkmcnt(9)
	v_pk_add_f32 v[8:9], v[8:9], v[10:11]
	v_cndmask_b32_e64 v16, -v58, v58, s[22:23]
	v_cndmask_b32_e64 v17, -v59, v59, s[22:23]
	;; [unrolled: 1-line block ×4, first 2 shown]
	s_waitcnt lgkmcnt(7)
	v_pk_add_f32 v[18:19], v[18:19], v[32:33]
	v_cndmask_b32_e64 v7, -v7, v7, s[20:21]
	v_cndmask_b32_e64 v6, -v6, v6, s[20:21]
	ds_bpermute_b32 v10, v1, v8
	ds_bpermute_b32 v11, v1, v9
	;; [unrolled: 1-line block ×4, first 2 shown]
	v_pk_add_f32 v[26:27], v[50:51], v[48:49]
	s_waitcnt lgkmcnt(5)
	v_pk_add_f32 v[6:7], v[6:7], v[12:13]
	v_pk_add_f32 v[12:13], v[16:17], v[14:15]
	;; [unrolled: 1-line block ×3, first 2 shown]
	ds_bpermute_b32 v30, v24, v26
	ds_bpermute_b32 v31, v24, v27
	;; [unrolled: 1-line block ×6, first 2 shown]
	v_cndmask_b32_e64 v9, -v9, v9, s[20:21]
	v_cndmask_b32_e64 v8, -v8, v8, s[20:21]
	v_cndmask_b32_e64 v19, -v19, v19, s[20:21]
	v_cndmask_b32_e64 v18, -v18, v18, s[20:21]
	s_waitcnt lgkmcnt(8)
	v_pk_add_f32 v[8:9], v[8:9], v[10:11]
	s_waitcnt lgkmcnt(6)
	v_pk_add_f32 v[18:19], v[18:19], v[20:21]
	v_cndmask_b32_e64 v21, -v27, v27, s[18:19]
	v_cndmask_b32_e64 v20, -v26, v26, s[18:19]
	ds_write_b128 v28, v[6:9] offset:24576
	v_cndmask_b32_e64 v7, -v13, v13, s[18:19]
	v_cndmask_b32_e64 v6, -v12, v12, s[18:19]
	;; [unrolled: 1-line block ×4, first 2 shown]
	s_waitcnt lgkmcnt(5)
	v_pk_add_f32 v[20:21], v[20:21], v[30:31]
	s_waitcnt lgkmcnt(3)
	v_pk_add_f32 v[6:7], v[6:7], v[14:15]
	;; [unrolled: 2-line block ×3, first 2 shown]
	ds_bpermute_b32 v26, v1, v20
	ds_bpermute_b32 v27, v1, v21
	ds_bpermute_b32 v8, v1, v6
	ds_bpermute_b32 v9, v1, v7
	ds_bpermute_b32 v10, v1, v4
	ds_bpermute_b32 v11, v1, v5
	v_and_b32_e32 v25, 3, v0
	v_lshrrev_b32_e32 v0, 2, v0
	v_lshl_or_b32 v0, v25, 6, v0
	v_cndmask_b32_e64 v21, -v21, v21, s[20:21]
	v_cndmask_b32_e64 v20, -v20, v20, s[20:21]
	;; [unrolled: 1-line block ×6, first 2 shown]
	v_xor_b32_e32 v0, v0, v25
	s_waitcnt lgkmcnt(4)
	v_pk_add_f32 v[20:21], v[20:21], v[26:27]
	s_waitcnt lgkmcnt(2)
	v_pk_add_f32 v[2:3], v[6:7], v[8:9]
	;; [unrolled: 2-line block ×3, first 2 shown]
	v_lshl_add_u32 v29, v0, 4, 0
	ds_write_b128 v28, v[18:21] offset:20480
	ds_write_b128 v28, v[2:5] offset:28672
	s_waitcnt lgkmcnt(0)
	s_barrier
	ds_read_b128 v[12:15], v29
	ds_read_b128 v[16:19], v29 offset:4096
	ds_read_b128 v[24:27], v29 offset:8192
	;; [unrolled: 1-line block ×7, first 2 shown]
	s_waitcnt lgkmcnt(7)
	ds_bpermute_b32 v20, v23, v12
	ds_bpermute_b32 v21, v23, v13
	;; [unrolled: 1-line block ×4, first 2 shown]
	v_cndmask_b32_e64 v13, -v13, v13, s[14:15]
	v_cndmask_b32_e64 v12, -v12, v12, s[14:15]
	;; [unrolled: 1-line block ×4, first 2 shown]
	s_waitcnt lgkmcnt(0)
	v_pk_add_f32 v[14:15], v[14:15], v[38:39]
	v_pk_add_f32 v[12:13], v[12:13], v[20:21]
	ds_bpermute_b32 v20, v22, v12
	ds_bpermute_b32 v21, v22, v13
	;; [unrolled: 1-line block ×8, first 2 shown]
	v_cndmask_b32_e64 v13, -v13, v13, s[16:17]
	v_cndmask_b32_e64 v12, -v12, v12, s[16:17]
	;; [unrolled: 1-line block ×4, first 2 shown]
	s_waitcnt lgkmcnt(4)
	v_pk_add_f32 v[14:15], v[14:15], v[38:39]
	v_pk_add_f32 v[12:13], v[12:13], v[20:21]
	s_waitcnt lgkmcnt(0)
	s_barrier
	ds_write_b128 v29, v[12:15]
	v_cndmask_b32_e64 v13, -v17, v17, s[14:15]
	v_cndmask_b32_e64 v12, -v16, v16, s[14:15]
	;; [unrolled: 1-line block ×4, first 2 shown]
	v_pk_add_f32 v[14:15], v[14:15], v[42:43]
	v_pk_add_f32 v[12:13], v[12:13], v[40:41]
	ds_bpermute_b32 v18, v22, v12
	ds_bpermute_b32 v19, v22, v13
	ds_bpermute_b32 v40, v22, v14
	ds_bpermute_b32 v41, v22, v15
	ds_bpermute_b32 v44, v23, v24
	ds_bpermute_b32 v45, v23, v25
	ds_bpermute_b32 v46, v23, v26
	ds_bpermute_b32 v47, v23, v27
	v_cndmask_b32_e64 v13, -v13, v13, s[16:17]
	v_cndmask_b32_e64 v12, -v12, v12, s[16:17]
	v_cndmask_b32_e64 v15, -v15, v15, s[16:17]
	v_cndmask_b32_e64 v14, -v14, v14, s[16:17]
	s_waitcnt lgkmcnt(4)
	v_pk_add_f32 v[14:15], v[14:15], v[40:41]
	v_pk_add_f32 v[12:13], v[12:13], v[18:19]
	ds_write_b128 v29, v[12:15] offset:4096
	v_cndmask_b32_e64 v13, -v25, v25, s[14:15]
	v_cndmask_b32_e64 v12, -v24, v24, s[14:15]
	v_cndmask_b32_e64 v15, -v27, v27, s[14:15]
	v_cndmask_b32_e64 v14, -v26, v26, s[14:15]
	s_waitcnt lgkmcnt(1)
	v_pk_add_f32 v[14:15], v[14:15], v[46:47]
	v_pk_add_f32 v[12:13], v[12:13], v[44:45]
	ds_bpermute_b32 v44, v22, v12
	ds_bpermute_b32 v45, v22, v13
	ds_bpermute_b32 v46, v22, v14
	ds_bpermute_b32 v47, v22, v15
	ds_bpermute_b32 v48, v23, v30
	ds_bpermute_b32 v49, v23, v31
	ds_bpermute_b32 v50, v23, v32
	ds_bpermute_b32 v51, v23, v33
	v_cndmask_b32_e64 v13, -v13, v13, s[16:17]
	v_cndmask_b32_e64 v12, -v12, v12, s[16:17]
	v_cndmask_b32_e64 v15, -v15, v15, s[16:17]
	v_cndmask_b32_e64 v14, -v14, v14, s[16:17]
	s_waitcnt lgkmcnt(4)
	v_pk_add_f32 v[14:15], v[14:15], v[46:47]
	v_pk_add_f32 v[12:13], v[12:13], v[44:45]
	ds_write_b128 v29, v[12:15] offset:8192
	v_cndmask_b32_e64 v13, -v31, v31, s[14:15]
	v_cndmask_b32_e64 v12, -v30, v30, s[14:15]
	v_cndmask_b32_e64 v15, -v33, v33, s[14:15]
	v_cndmask_b32_e64 v14, -v32, v32, s[14:15]
	s_waitcnt lgkmcnt(1)
	;; [unrolled: 23-line block ×3, first 2 shown]
	v_pk_add_f32 v[14:15], v[14:15], v[38:39]
	v_pk_add_f32 v[12:13], v[12:13], v[20:21]
	ds_bpermute_b32 v16, v23, v8
	ds_bpermute_b32 v17, v23, v9
	;; [unrolled: 1-line block ×8, first 2 shown]
	v_cndmask_b32_e64 v13, -v13, v13, s[16:17]
	v_cndmask_b32_e64 v12, -v12, v12, s[16:17]
	;; [unrolled: 1-line block ×8, first 2 shown]
	s_waitcnt lgkmcnt(0)
	v_pk_add_f32 v[14:15], v[14:15], v[30:31]
	v_pk_add_f32 v[12:13], v[12:13], v[20:21]
	;; [unrolled: 1-line block ×4, first 2 shown]
	ds_bpermute_b32 v18, v23, v4
	ds_bpermute_b32 v19, v23, v5
	;; [unrolled: 1-line block ×4, first 2 shown]
	ds_write_b128 v29, v[12:15] offset:16384
	ds_bpermute_b32 v12, v22, v8
	ds_bpermute_b32 v13, v22, v9
	;; [unrolled: 1-line block ×4, first 2 shown]
	v_cndmask_b32_e64 v9, -v9, v9, s[16:17]
	v_cndmask_b32_e64 v8, -v8, v8, s[16:17]
	;; [unrolled: 1-line block ×8, first 2 shown]
	s_waitcnt lgkmcnt(0)
	v_pk_add_f32 v[10:11], v[10:11], v[14:15]
	v_pk_add_f32 v[8:9], v[8:9], v[12:13]
	v_pk_add_f32 v[6:7], v[6:7], v[40:41]
	v_pk_add_f32 v[4:5], v[4:5], v[18:19]
	ds_bpermute_b32 v24, v23, v0
	ds_bpermute_b32 v25, v23, v1
	;; [unrolled: 1-line block ×4, first 2 shown]
	ds_write_b128 v29, v[8:11] offset:20480
	ds_bpermute_b32 v8, v22, v4
	ds_bpermute_b32 v9, v22, v5
	;; [unrolled: 1-line block ×4, first 2 shown]
	v_cndmask_b32_e64 v5, -v5, v5, s[16:17]
	v_cndmask_b32_e64 v4, -v4, v4, s[16:17]
	;; [unrolled: 1-line block ×8, first 2 shown]
	s_waitcnt lgkmcnt(0)
	v_pk_add_f32 v[6:7], v[6:7], v[10:11]
	v_pk_add_f32 v[4:5], v[4:5], v[8:9]
	;; [unrolled: 1-line block ×4, first 2 shown]
	ds_write_b128 v29, v[4:7] offset:24576
	ds_bpermute_b32 v4, v22, v0
	ds_bpermute_b32 v5, v22, v1
	;; [unrolled: 1-line block ×4, first 2 shown]
	v_cndmask_b32_e64 v1, -v1, v1, s[16:17]
	v_cndmask_b32_e64 v0, -v0, v0, s[16:17]
	;; [unrolled: 1-line block ×4, first 2 shown]
	s_waitcnt lgkmcnt(0)
	v_pk_add_f32 v[2:3], v[2:3], v[6:7]
	v_pk_add_f32 v[0:1], v[0:1], v[4:5]
	ds_write_b128 v29, v[0:3] offset:28672
	s_waitcnt lgkmcnt(0)
	s_barrier
	ds_read_b128 v[0:3], v28
	ds_read_b128 v[4:7], v28 offset:4096
	ds_read_b128 v[8:11], v28 offset:8192
	;; [unrolled: 1-line block ×7, first 2 shown]
	s_mul_i32 s4, s30, s7
	s_mul_hi_u32 s5, s30, s6
	s_add_i32 s4, s5, s4
	s_mul_i32 s5, s31, s6
	s_add_i32 s5, s4, s5
	s_mul_i32 s4, s30, s6
	s_lshl_b64 s[4:5], s[4:5], 2
	s_waitcnt lgkmcnt(6)
	v_pk_add_f32 v[40:41], v[0:1], v[4:5]
	s_waitcnt lgkmcnt(4)
	v_pk_add_f32 v[42:43], v[8:9], v[12:13]
	;; [unrolled: 2-line block ×4, first 2 shown]
	v_pk_add_f32 v[48:49], v[2:3], v[6:7]
	v_pk_add_f32 v[50:51], v[10:11], v[14:15]
	;; [unrolled: 1-line block ×4, first 2 shown]
	s_add_u32 s4, s38, s4
	v_pk_add_f32 v[32:33], v[40:41], v[42:43]
	v_pk_add_f32 v[34:35], v[44:45], v[46:47]
	s_addc_u32 s5, s39, s5
	s_mov_b32 s29, s28
	v_pk_add_f32 v[36:37], v[48:49], v[50:51]
	v_pk_add_f32 v[38:39], v[52:53], v[54:55]
	s_and_saveexec_b64 s[6:7], s[0:1]
	s_cbranch_execz .LBB10_18
; %bb.17:
	v_pk_add_f32 v[58:59], v[32:33], v[34:35]
	v_pk_add_f32 v[60:61], v[36:37], v[38:39]
	v_pk_mul_f32 v[58:59], s[28:29], v[58:59]
	v_pk_mul_f32 v[60:61], s[28:29], v[60:61]
	global_store_dwordx4 v56, v[58:61], s[4:5]
.LBB10_18:
	s_or_b64 exec, exec, s[6:7]
	v_pk_add_f32 v[56:57], v[0:1], v[4:5] neg_lo:[0,1] neg_hi:[0,1]
	v_pk_add_f32 v[58:59], v[8:9], v[12:13] neg_lo:[0,1] neg_hi:[0,1]
	;; [unrolled: 1-line block ×8, first 2 shown]
	v_pk_add_f32 v[0:1], v[56:57], v[58:59]
	v_pk_add_f32 v[4:5], v[20:21], v[24:25]
	;; [unrolled: 1-line block ×4, first 2 shown]
	s_and_saveexec_b64 s[0:1], vcc
	s_cbranch_execz .LBB10_20
; %bb.19:
	v_pk_add_f32 v[8:9], v[0:1], v[4:5]
	v_pk_add_f32 v[10:11], v[2:3], v[6:7]
	v_pk_mul_f32 v[8:9], s[28:29], v[8:9]
	v_pk_mul_f32 v[10:11], s[28:29], v[10:11]
	global_store_dwordx4 v62, v[8:11], s[4:5]
.LBB10_20:
	s_or_b64 exec, exec, s[0:1]
	v_pk_add_f32 v[8:9], v[40:41], v[42:43] neg_lo:[0,1] neg_hi:[0,1]
	v_pk_add_f32 v[10:11], v[44:45], v[46:47] neg_lo:[0,1] neg_hi:[0,1]
	;; [unrolled: 1-line block ×4, first 2 shown]
	s_and_saveexec_b64 s[0:1], s[2:3]
	s_cbranch_execz .LBB10_22
; %bb.21:
	v_pk_add_f32 v[16:17], v[8:9], v[10:11]
	v_pk_add_f32 v[18:19], v[12:13], v[14:15]
	v_pk_mul_f32 v[16:17], s[28:29], v[16:17]
	v_pk_mul_f32 v[18:19], s[28:29], v[18:19]
	global_store_dwordx4 v63, v[16:19], s[4:5]
.LBB10_22:
	s_or_b64 exec, exec, s[0:1]
	v_pk_add_f32 v[16:17], v[56:57], v[58:59] neg_lo:[0,1] neg_hi:[0,1]
	v_pk_add_f32 v[18:19], v[20:21], v[24:25] neg_lo:[0,1] neg_hi:[0,1]
	;; [unrolled: 1-line block ×4, first 2 shown]
	s_and_saveexec_b64 s[0:1], s[24:25]
	s_cbranch_execnz .LBB10_28
; %bb.23:
	s_or_b64 exec, exec, s[0:1]
	s_and_saveexec_b64 s[0:1], s[26:27]
	s_cbranch_execnz .LBB10_29
.LBB10_24:
	s_or_b64 exec, exec, s[0:1]
	s_and_saveexec_b64 s[0:1], s[8:9]
	s_cbranch_execnz .LBB10_30
.LBB10_25:
	s_or_b64 exec, exec, s[0:1]
	s_and_saveexec_b64 s[0:1], s[10:11]
	s_cbranch_execnz .LBB10_31
.LBB10_26:
	s_or_b64 exec, exec, s[0:1]
	s_and_saveexec_b64 s[0:1], s[12:13]
	s_cbranch_execnz .LBB10_32
.LBB10_27:
	s_endpgm
.LBB10_28:
	v_pk_add_f32 v[24:25], v[16:17], v[18:19]
	v_pk_add_f32 v[26:27], v[20:21], v[22:23]
	v_pk_mul_f32 v[24:25], s[28:29], v[24:25]
	v_pk_mul_f32 v[26:27], s[28:29], v[26:27]
	global_store_dwordx4 v64, v[24:27], s[4:5]
	s_or_b64 exec, exec, s[0:1]
	s_and_saveexec_b64 s[0:1], s[26:27]
	s_cbranch_execz .LBB10_24
.LBB10_29:
	v_pk_add_f32 v[24:25], v[32:33], v[34:35] neg_lo:[0,1] neg_hi:[0,1]
	v_pk_add_f32 v[26:27], v[36:37], v[38:39] neg_lo:[0,1] neg_hi:[0,1]
	v_pk_mul_f32 v[24:25], s[28:29], v[24:25]
	v_pk_mul_f32 v[26:27], s[28:29], v[26:27]
	global_store_dwordx4 v65, v[24:27], s[4:5]
	s_or_b64 exec, exec, s[0:1]
	s_and_saveexec_b64 s[0:1], s[8:9]
	s_cbranch_execz .LBB10_25
.LBB10_30:
	v_pk_add_f32 v[0:1], v[0:1], v[4:5] neg_lo:[0,1] neg_hi:[0,1]
	v_pk_add_f32 v[2:3], v[2:3], v[6:7] neg_lo:[0,1] neg_hi:[0,1]
	v_pk_mul_f32 v[0:1], s[28:29], v[0:1]
	v_pk_mul_f32 v[2:3], s[28:29], v[2:3]
	global_store_dwordx4 v66, v[0:3], s[4:5]
	s_or_b64 exec, exec, s[0:1]
	s_and_saveexec_b64 s[0:1], s[10:11]
	s_cbranch_execz .LBB10_26
.LBB10_31:
	v_pk_add_f32 v[0:1], v[8:9], v[10:11] neg_lo:[0,1] neg_hi:[0,1]
	v_pk_add_f32 v[2:3], v[12:13], v[14:15] neg_lo:[0,1] neg_hi:[0,1]
	v_pk_mul_f32 v[0:1], s[28:29], v[0:1]
	v_pk_mul_f32 v[2:3], s[28:29], v[2:3]
	global_store_dwordx4 v67, v[0:3], s[4:5]
	s_or_b64 exec, exec, s[0:1]
	s_and_saveexec_b64 s[0:1], s[12:13]
	s_cbranch_execz .LBB10_27
.LBB10_32:
	v_pk_add_f32 v[0:1], v[16:17], v[18:19] neg_lo:[0,1] neg_hi:[0,1]
	v_pk_add_f32 v[2:3], v[20:21], v[22:23] neg_lo:[0,1] neg_hi:[0,1]
	v_pk_mul_f32 v[0:1], s[28:29], v[0:1]
	v_pk_mul_f32 v[2:3], s[28:29], v[2:3]
	global_store_dwordx4 v68, v[0:3], s[4:5]
	s_endpgm
	.section	.rodata,"a",@progbits
	.p2align	6, 0x0
	.amdhsa_kernel _Z30fast_hadamard_transform_kernelI37fast_hadamard_transform_kernel_traitsILi256ELi13EfEEv18HadamardParamsBase
		.amdhsa_group_segment_fixed_size 0
		.amdhsa_private_segment_fixed_size 0
		.amdhsa_kernarg_size 312
		.amdhsa_user_sgpr_count 6
		.amdhsa_user_sgpr_private_segment_buffer 1
		.amdhsa_user_sgpr_dispatch_ptr 0
		.amdhsa_user_sgpr_queue_ptr 0
		.amdhsa_user_sgpr_kernarg_segment_ptr 1
		.amdhsa_user_sgpr_dispatch_id 0
		.amdhsa_user_sgpr_flat_scratch_init 0
		.amdhsa_user_sgpr_kernarg_preload_length 0
		.amdhsa_user_sgpr_kernarg_preload_offset 0
		.amdhsa_user_sgpr_private_segment_size 0
		.amdhsa_uses_dynamic_stack 0
		.amdhsa_system_sgpr_private_segment_wavefront_offset 0
		.amdhsa_system_sgpr_workgroup_id_x 1
		.amdhsa_system_sgpr_workgroup_id_y 0
		.amdhsa_system_sgpr_workgroup_id_z 0
		.amdhsa_system_sgpr_workgroup_info 0
		.amdhsa_system_vgpr_workitem_id 0
		.amdhsa_next_free_vgpr 78
		.amdhsa_next_free_sgpr 40
		.amdhsa_accum_offset 80
		.amdhsa_reserve_vcc 1
		.amdhsa_reserve_flat_scratch 0
		.amdhsa_float_round_mode_32 0
		.amdhsa_float_round_mode_16_64 0
		.amdhsa_float_denorm_mode_32 3
		.amdhsa_float_denorm_mode_16_64 3
		.amdhsa_dx10_clamp 1
		.amdhsa_ieee_mode 1
		.amdhsa_fp16_overflow 0
		.amdhsa_tg_split 0
		.amdhsa_exception_fp_ieee_invalid_op 0
		.amdhsa_exception_fp_denorm_src 0
		.amdhsa_exception_fp_ieee_div_zero 0
		.amdhsa_exception_fp_ieee_overflow 0
		.amdhsa_exception_fp_ieee_underflow 0
		.amdhsa_exception_fp_ieee_inexact 0
		.amdhsa_exception_int_div_zero 0
	.end_amdhsa_kernel
	.section	.text._Z30fast_hadamard_transform_kernelI37fast_hadamard_transform_kernel_traitsILi256ELi13EfEEv18HadamardParamsBase,"axG",@progbits,_Z30fast_hadamard_transform_kernelI37fast_hadamard_transform_kernel_traitsILi256ELi13EfEEv18HadamardParamsBase,comdat
.Lfunc_end10:
	.size	_Z30fast_hadamard_transform_kernelI37fast_hadamard_transform_kernel_traitsILi256ELi13EfEEv18HadamardParamsBase, .Lfunc_end10-_Z30fast_hadamard_transform_kernelI37fast_hadamard_transform_kernel_traitsILi256ELi13EfEEv18HadamardParamsBase
                                        ; -- End function
	.section	.AMDGPU.csdata,"",@progbits
; Kernel info:
; codeLenInByte = 8140
; NumSgprs: 44
; NumVgprs: 78
; NumAgprs: 0
; TotalNumVgprs: 78
; ScratchSize: 0
; MemoryBound: 0
; FloatMode: 240
; IeeeMode: 1
; LDSByteSize: 0 bytes/workgroup (compile time only)
; SGPRBlocks: 5
; VGPRBlocks: 9
; NumSGPRsForWavesPerEU: 44
; NumVGPRsForWavesPerEU: 78
; AccumOffset: 80
; Occupancy: 6
; WaveLimiterHint : 0
; COMPUTE_PGM_RSRC2:SCRATCH_EN: 0
; COMPUTE_PGM_RSRC2:USER_SGPR: 6
; COMPUTE_PGM_RSRC2:TRAP_HANDLER: 0
; COMPUTE_PGM_RSRC2:TGID_X_EN: 1
; COMPUTE_PGM_RSRC2:TGID_Y_EN: 0
; COMPUTE_PGM_RSRC2:TGID_Z_EN: 0
; COMPUTE_PGM_RSRC2:TIDIG_COMP_CNT: 0
; COMPUTE_PGM_RSRC3_GFX90A:ACCUM_OFFSET: 19
; COMPUTE_PGM_RSRC3_GFX90A:TG_SPLIT: 0
	.section	.text._Z30fast_hadamard_transform_kernelI37fast_hadamard_transform_kernel_traitsILi256ELi14EfEEv18HadamardParamsBase,"axG",@progbits,_Z30fast_hadamard_transform_kernelI37fast_hadamard_transform_kernel_traitsILi256ELi14EfEEv18HadamardParamsBase,comdat
	.protected	_Z30fast_hadamard_transform_kernelI37fast_hadamard_transform_kernel_traitsILi256ELi14EfEEv18HadamardParamsBase ; -- Begin function _Z30fast_hadamard_transform_kernelI37fast_hadamard_transform_kernel_traitsILi256ELi14EfEEv18HadamardParamsBase
	.globl	_Z30fast_hadamard_transform_kernelI37fast_hadamard_transform_kernel_traitsILi256ELi14EfEEv18HadamardParamsBase
	.p2align	8
	.type	_Z30fast_hadamard_transform_kernelI37fast_hadamard_transform_kernel_traitsILi256ELi14EfEEv18HadamardParamsBase,@function
_Z30fast_hadamard_transform_kernelI37fast_hadamard_transform_kernel_traitsILi256ELi14EfEEv18HadamardParamsBase: ; @_Z30fast_hadamard_transform_kernelI37fast_hadamard_transform_kernel_traitsILi256ELi14EfEEv18HadamardParamsBase
; %bb.0:
	s_load_dwordx4 s[44:47], s[4:5], 0x10
	s_load_dword s33, s[4:5], 0x4
	s_ashr_i32 s7, s6, 31
	s_load_dwordx4 s[48:51], s[4:5], 0x28
	s_load_dword s2, s[4:5], 0x44
	s_waitcnt lgkmcnt(0)
	s_mul_hi_u32 s0, s44, s6
	s_mul_i32 s1, s44, s7
	s_add_i32 s0, s0, s1
	s_mul_i32 s1, s45, s6
	s_add_i32 s1, s0, s1
	s_mul_i32 s0, s44, s6
	s_lshl_b64 s[0:1], s[0:1], 2
	s_add_u32 s30, s48, s0
	v_lshlrev_b32_e32 v1, 2, v0
	s_addc_u32 s31, s49, s1
	v_cmp_gt_u32_e64 s[12:13], s33, v1
	v_mov_b32_e32 v70, 0
	v_lshlrev_b32_e32 v126, 4, v0
	v_mov_b32_e32 v72, 0
	v_mov_b32_e32 v73, 0
	;; [unrolled: 1-line block ×4, first 2 shown]
	s_and_saveexec_b64 s[0:1], s[12:13]
	s_cbranch_execz .LBB11_2
; %bb.1:
	global_load_dwordx4 v[2:5], v126, s[30:31]
	s_waitcnt vmcnt(0)
	v_mov_b32_e32 v72, v2
	v_mov_b32_e32 v73, v4
	;; [unrolled: 1-line block ×3, first 2 shown]
.LBB11_2:
	s_or_b64 exec, exec, s[0:1]
	s_and_b32 s34, 0xffff, s2
	v_add_u32_e32 v1, s34, v0
	v_lshlrev_b32_e32 v2, 2, v1
	v_cmp_gt_u32_e64 s[42:43], s33, v2
	v_lshlrev_b32_e32 v137, 4, v1
	v_mov_b32_e32 v71, 0
	v_mov_b32_e32 v8, 0
	;; [unrolled: 1-line block ×3, first 2 shown]
	s_and_saveexec_b64 s[0:1], s[42:43]
	s_cbranch_execz .LBB11_4
; %bb.3:
	global_load_dwordx4 v[6:9], v137, s[30:31]
	s_waitcnt vmcnt(0)
	v_mov_b32_e32 v70, v6
	v_mov_b32_e32 v71, v8
	;; [unrolled: 1-line block ×3, first 2 shown]
.LBB11_4:
	s_or_b64 exec, exec, s[0:1]
	v_add_u32_e32 v1, s34, v1
	v_lshlrev_b32_e32 v2, 2, v1
	v_cmp_gt_u32_e64 s[0:1], s33, v2
	v_mov_b32_e32 v2, 0
	v_lshlrev_b32_e32 v135, 4, v1
	v_mov_b32_e32 v6, 0
	v_mov_b32_e32 v7, 0
	;; [unrolled: 1-line block ×4, first 2 shown]
	s_and_saveexec_b64 s[2:3], s[0:1]
	s_cbranch_execz .LBB11_6
; %bb.5:
	global_load_dwordx4 v[10:13], v135, s[30:31]
	s_waitcnt vmcnt(0)
	v_mov_b32_e32 v6, v10
	v_mov_b32_e32 v7, v12
	;; [unrolled: 1-line block ×3, first 2 shown]
.LBB11_6:
	s_or_b64 exec, exec, s[2:3]
	v_add_u32_e32 v1, s34, v1
	v_lshlrev_b32_e32 v3, 2, v1
	v_cmp_gt_u32_e32 vcc, s33, v3
	v_lshlrev_b32_e32 v134, 4, v1
	v_mov_b32_e32 v3, 0
	v_mov_b32_e32 v16, 0
	;; [unrolled: 1-line block ×3, first 2 shown]
	s_and_saveexec_b64 s[2:3], vcc
	s_cbranch_execz .LBB11_8
; %bb.7:
	global_load_dwordx4 v[14:17], v134, s[30:31]
	s_waitcnt vmcnt(0)
	v_mov_b32_e32 v2, v14
	v_mov_b32_e32 v3, v16
	v_mov_b32_e32 v16, v15
.LBB11_8:
	s_or_b64 exec, exec, s[2:3]
	v_add_u32_e32 v1, s34, v1
	v_lshlrev_b32_e32 v10, 2, v1
	v_cmp_gt_u32_e64 s[2:3], s33, v10
	v_mov_b32_e32 v10, 0
	v_lshlrev_b32_e32 v136, 4, v1
	v_mov_b32_e32 v14, 0
	v_mov_b32_e32 v15, 0
	v_mov_b32_e32 v20, 0
	v_mov_b32_e32 v21, 0
	s_and_saveexec_b64 s[8:9], s[2:3]
	s_cbranch_execz .LBB11_10
; %bb.9:
	global_load_dwordx4 v[18:21], v136, s[30:31]
	s_waitcnt vmcnt(0)
	v_mov_b32_e32 v14, v18
	v_mov_b32_e32 v15, v20
	v_mov_b32_e32 v20, v19
.LBB11_10:
	s_or_b64 exec, exec, s[8:9]
	v_add_u32_e32 v1, s34, v1
	v_lshlrev_b32_e32 v11, 2, v1
	v_cmp_gt_u32_e64 s[44:45], s33, v11
	v_lshlrev_b32_e32 v138, 4, v1
	v_mov_b32_e32 v11, 0
	v_mov_b32_e32 v24, 0
	v_mov_b32_e32 v25, 0
	s_and_saveexec_b64 s[8:9], s[44:45]
	s_cbranch_execz .LBB11_12
; %bb.11:
	global_load_dwordx4 v[22:25], v138, s[30:31]
	s_waitcnt vmcnt(0)
	v_mov_b32_e32 v10, v22
	v_mov_b32_e32 v11, v24
	v_mov_b32_e32 v24, v23
.LBB11_12:
	s_or_b64 exec, exec, s[8:9]
	v_add_u32_e32 v1, s34, v1
	v_lshlrev_b32_e32 v18, 2, v1
	v_cmp_gt_u32_e64 s[8:9], s33, v18
	v_mov_b32_e32 v18, 0
	v_lshlrev_b32_e32 v139, 4, v1
	v_mov_b32_e32 v22, 0
	v_mov_b32_e32 v23, 0
	v_mov_b32_e32 v28, 0
	v_mov_b32_e32 v29, 0
	s_and_saveexec_b64 s[10:11], s[8:9]
	s_cbranch_execz .LBB11_14
; %bb.13:
	global_load_dwordx4 v[26:29], v139, s[30:31]
	s_waitcnt vmcnt(0)
	v_mov_b32_e32 v22, v26
	v_mov_b32_e32 v23, v28
	v_mov_b32_e32 v28, v27
.LBB11_14:
	s_or_b64 exec, exec, s[10:11]
	v_add_u32_e32 v1, s34, v1
	v_lshlrev_b32_e32 v19, 2, v1
	v_cmp_gt_u32_e64 s[10:11], s33, v19
	v_lshlrev_b32_e32 v140, 4, v1
	v_mov_b32_e32 v19, 0
	v_mov_b32_e32 v32, 0
	v_mov_b32_e32 v33, 0
	s_and_saveexec_b64 s[14:15], s[10:11]
	;; [unrolled: 36-line block ×4, first 2 shown]
	s_cbranch_execz .LBB11_24
; %bb.23:
	global_load_dwordx4 v[46:49], v144, s[30:31]
	s_waitcnt vmcnt(0)
	v_mov_b32_e32 v34, v46
	v_mov_b32_e32 v35, v48
	;; [unrolled: 1-line block ×3, first 2 shown]
.LBB11_24:
	s_or_b64 exec, exec, s[22:23]
	v_add_u32_e32 v1, s34, v1
	v_lshlrev_b32_e32 v42, 2, v1
	v_cmp_gt_u32_e64 s[22:23], s33, v42
	v_mov_b32_e32 v46, 0
	v_lshlrev_b32_e32 v145, 4, v1
	v_mov_b32_e32 v42, 0
	v_mov_b32_e32 v43, 0
	;; [unrolled: 1-line block ×4, first 2 shown]
	s_and_saveexec_b64 s[24:25], s[22:23]
	s_cbranch_execz .LBB11_26
; %bb.25:
	global_load_dwordx4 v[50:53], v145, s[30:31]
	s_waitcnt vmcnt(0)
	v_mov_b32_e32 v42, v50
	v_mov_b32_e32 v43, v52
	;; [unrolled: 1-line block ×3, first 2 shown]
.LBB11_26:
	s_or_b64 exec, exec, s[24:25]
	v_add_u32_e32 v64, s34, v1
	v_lshlrev_b32_e32 v1, 2, v64
	v_cmp_gt_u32_e64 s[24:25], s33, v1
	v_mov_b32_e32 v47, 0
	v_mov_b32_e32 v56, 0
	;; [unrolled: 1-line block ×3, first 2 shown]
	s_and_saveexec_b64 s[28:29], s[24:25]
	s_cbranch_execz .LBB11_28
; %bb.27:
	v_mov_b32_e32 v65, 0
	v_lshlrev_b64 v[46:47], 4, v[64:65]
	v_mov_b32_e32 v1, s31
	v_add_co_u32_e64 v46, s[26:27], s30, v46
	v_addc_co_u32_e64 v47, s[26:27], v1, v47, s[26:27]
	global_load_dwordx4 v[54:57], v[46:47], off
	s_waitcnt vmcnt(0)
	v_mov_b32_e32 v46, v54
	v_mov_b32_e32 v47, v56
	;; [unrolled: 1-line block ×3, first 2 shown]
.LBB11_28:
	s_or_b64 exec, exec, s[28:29]
	s_load_dwordx2 s[48:49], s[4:5], 0x20
	v_add_u32_e32 v66, s34, v64
	v_lshlrev_b32_e32 v1, 2, v66
	v_cmp_gt_u32_e64 s[26:27], s33, v1
	v_mov_b32_e32 v58, 0
	v_mov_b32_e32 v50, 0
	;; [unrolled: 1-line block ×5, first 2 shown]
	s_and_saveexec_b64 s[28:29], s[26:27]
	s_cbranch_execz .LBB11_30
; %bb.29:
	v_mov_b32_e32 v67, 0
	v_lshlrev_b64 v[50:51], 4, v[66:67]
	v_mov_b32_e32 v1, s31
	v_add_co_u32_e64 v50, s[4:5], s30, v50
	v_addc_co_u32_e64 v51, s[4:5], v1, v51, s[4:5]
	global_load_dwordx4 v[60:63], v[50:51], off
	s_waitcnt vmcnt(0)
	v_mov_b32_e32 v50, v60
	v_mov_b32_e32 v51, v62
	;; [unrolled: 1-line block ×3, first 2 shown]
.LBB11_30:
	s_or_b64 exec, exec, s[28:29]
	v_add_u32_e32 v68, s34, v66
	v_lshlrev_b32_e32 v1, 2, v68
	v_cmp_gt_u32_e64 s[28:29], s33, v1
	v_mov_b32_e32 v54, 0
	v_mov_b32_e32 v59, 0
	;; [unrolled: 1-line block ×3, first 2 shown]
	s_and_saveexec_b64 s[34:35], s[28:29]
	s_cbranch_execz .LBB11_32
; %bb.31:
	v_mov_b32_e32 v69, 0
	v_lshlrev_b64 v[54:55], 4, v[68:69]
	v_mov_b32_e32 v1, s31
	v_add_co_u32_e64 v54, s[4:5], s30, v54
	v_addc_co_u32_e64 v55, s[4:5], v1, v55, s[4:5]
	global_load_dwordx4 v[58:61], v[54:55], off
	s_waitcnt vmcnt(0)
	v_mov_b32_e32 v54, v59
	v_mov_b32_e32 v59, v60
	;; [unrolled: 1-line block ×3, first 2 shown]
.LBB11_32:
	s_or_b64 exec, exec, s[34:35]
	v_pk_add_f32 v[60:61], v[72:73], v[4:5] neg_lo:[0,1] neg_hi:[0,1]
	v_pk_add_f32 v[4:5], v[72:73], v[4:5]
	v_pk_add_f32 v[72:73], v[70:71], v[8:9] neg_lo:[0,1] neg_hi:[0,1]
	v_pk_add_f32 v[8:9], v[70:71], v[8:9]
	;; [unrolled: 2-line block ×4, first 2 shown]
	v_mov_b32_e32 v28, v5
	v_pk_add_f32 v[70:71], v[6:7], v[12:13] neg_lo:[0,1] neg_hi:[0,1]
	v_pk_add_f32 v[6:7], v[6:7], v[12:13]
	v_pk_add_f32 v[76:77], v[14:15], v[20:21] neg_lo:[0,1] neg_hi:[0,1]
	v_pk_add_f32 v[12:13], v[14:15], v[20:21]
	;; [unrolled: 2-line block ×3, first 2 shown]
	v_pk_add_f32 v[82:83], v[30:31], v[36:37] neg_lo:[0,1] neg_hi:[0,1]
	v_pk_add_f32 v[22:23], v[26:27], v[40:41] neg_lo:[0,1] neg_hi:[0,1]
	;; [unrolled: 1-line block ×4, first 2 shown]
	v_pk_add_f32 v[20:21], v[30:31], v[36:37]
	v_pk_add_f32 v[30:31], v[46:47], v[56:57] neg_lo:[0,1] neg_hi:[0,1]
	v_pk_add_f32 v[90:91], v[50:51], v[62:63] neg_lo:[0,1] neg_hi:[0,1]
	v_pk_add_f32 v[24:25], v[26:27], v[40:41]
	v_pk_add_f32 v[26:27], v[38:39], v[44:45]
	;; [unrolled: 1-line block ×6, first 2 shown]
	v_pk_add_f32 v[52:53], v[58:59], v[54:55] neg_lo:[0,1] neg_hi:[0,1]
	v_pk_add_f32 v[54:55], v[4:5], v[28:29]
	v_pk_add_f32 v[56:57], v[4:5], v[28:29] neg_lo:[0,1] neg_hi:[0,1]
	v_mov_b32_e32 v4, v9
	v_pk_add_f32 v[58:59], v[8:9], v[4:5]
	v_pk_add_f32 v[62:63], v[8:9], v[4:5] neg_lo:[0,1] neg_hi:[0,1]
	v_mov_b32_e32 v4, v7
	;; [unrolled: 3-line block ×5, first 2 shown]
	v_pk_add_f32 v[80:81], v[18:19], v[32:33] neg_lo:[0,1] neg_hi:[0,1]
	v_pk_add_f32 v[18:19], v[18:19], v[32:33]
	v_pk_add_f32 v[104:105], v[10:11], v[2:3]
	v_pk_add_f32 v[106:107], v[10:11], v[2:3] neg_lo:[0,1] neg_hi:[0,1]
	v_mov_b32_e32 v2, v17
	v_pk_add_f32 v[108:109], v[16:17], v[2:3]
	v_pk_add_f32 v[110:111], v[16:17], v[2:3] neg_lo:[0,1] neg_hi:[0,1]
	v_mov_b32_e32 v2, v19
	;; [unrolled: 3-line block ×3, first 2 shown]
	v_pk_add_f32 v[86:87], v[34:35], v[48:49] neg_lo:[0,1] neg_hi:[0,1]
	v_pk_add_f32 v[34:35], v[34:35], v[48:49]
	v_pk_add_f32 v[116:117], v[20:21], v[2:3]
	v_pk_add_f32 v[48:49], v[20:21], v[2:3] neg_lo:[0,1] neg_hi:[0,1]
	v_mov_b32_e32 v2, v25
	v_pk_add_f32 v[44:45], v[24:25], v[2:3]
	v_pk_add_f32 v[40:41], v[24:25], v[2:3] neg_lo:[0,1] neg_hi:[0,1]
	v_mov_b32_e32 v2, v27
	;; [unrolled: 3-line block ×7, first 2 shown]
	v_mbcnt_lo_u32_b32 v1, -1, 0
	v_pk_add_f32 v[4:5], v[50:51], v[2:3]
	v_pk_add_f32 v[2:3], v[50:51], v[2:3] neg_lo:[0,1] neg_hi:[0,1]
	v_mbcnt_hi_u32_b32 v1, -1, v1
	v_and_b32_e32 v3, 64, v1
	v_add_u32_e32 v7, 64, v3
	v_xor_b32_e32 v3, 1, v1
	v_cmp_lt_i32_e64 s[4:5], v3, v7
	v_cndmask_b32_e64 v3, v1, v3, s[4:5]
	v_lshlrev_b32_e32 v65, 2, v3
	v_mov_b32_e32 v18, v61
	ds_bpermute_b32 v3, v65, v54
	v_pk_add_f32 v[118:119], v[60:61], v[18:19]
	v_pk_add_f32 v[60:61], v[60:61], v[18:19] neg_lo:[0,1] neg_hi:[0,1]
	v_mov_b32_e32 v18, v73
	v_pk_add_f32 v[120:121], v[72:73], v[18:19]
	v_pk_add_f32 v[72:73], v[72:73], v[18:19] neg_lo:[0,1] neg_hi:[0,1]
	v_mov_b32_e32 v18, v71
	v_and_b32_e32 v5, 1, v0
	v_pk_add_f32 v[122:123], v[70:71], v[18:19]
	v_pk_add_f32 v[70:71], v[70:71], v[18:19] neg_lo:[0,1] neg_hi:[0,1]
	v_mov_b32_e32 v18, v75
	v_cmp_eq_u32_e64 s[30:31], 0, v5
	v_pk_add_f32 v[124:125], v[74:75], v[18:19]
	v_pk_add_f32 v[74:75], v[74:75], v[18:19] neg_lo:[0,1] neg_hi:[0,1]
	v_mov_b32_e32 v18, v77
	v_cndmask_b32_e64 v5, -v54, v54, s[30:31]
	v_pk_add_f32 v[128:129], v[76:77], v[18:19]
	v_pk_add_f32 v[76:77], v[76:77], v[18:19] neg_lo:[0,1] neg_hi:[0,1]
	v_mov_b32_e32 v18, v15
	s_waitcnt lgkmcnt(0)
	v_add_f32_e32 v3, v5, v3
	ds_bpermute_b32 v5, v65, v56
	v_pk_add_f32 v[130:131], v[14:15], v[18:19]
	v_pk_add_f32 v[132:133], v[14:15], v[18:19] neg_lo:[0,1] neg_hi:[0,1]
	v_mov_b32_e32 v14, v79
	v_pk_add_f32 v[146:147], v[78:79], v[14:15]
	v_pk_add_f32 v[78:79], v[78:79], v[14:15] neg_lo:[0,1] neg_hi:[0,1]
	v_mov_b32_e32 v14, v81
	;; [unrolled: 3-line block ×3, first 2 shown]
	ds_bpermute_b32 v9, v65, v118
	v_pk_add_f32 v[150:151], v[82:83], v[14:15]
	v_pk_add_f32 v[82:83], v[82:83], v[14:15] neg_lo:[0,1] neg_hi:[0,1]
	v_mov_b32_e32 v14, v23
	v_cndmask_b32_e64 v13, -v56, v56, s[30:31]
	v_pk_add_f32 v[152:153], v[22:23], v[14:15]
	v_pk_add_f32 v[154:155], v[22:23], v[14:15] neg_lo:[0,1] neg_hi:[0,1]
	v_mov_b32_e32 v14, v85
	s_waitcnt lgkmcnt(1)
	v_add_f32_e32 v5, v13, v5
	ds_bpermute_b32 v13, v65, v58
	v_pk_add_f32 v[156:157], v[84:85], v[14:15]
	v_pk_add_f32 v[84:85], v[84:85], v[14:15] neg_lo:[0,1] neg_hi:[0,1]
	v_mov_b32_e32 v14, v87
	v_pk_add_f32 v[50:51], v[86:87], v[14:15]
	v_pk_add_f32 v[46:47], v[86:87], v[14:15] neg_lo:[0,1] neg_hi:[0,1]
	v_mov_b32_e32 v14, v89
	v_cndmask_b32_e64 v11, -v118, v118, s[30:31]
	v_pk_add_f32 v[42:43], v[88:89], v[14:15]
	v_pk_add_f32 v[38:39], v[88:89], v[14:15] neg_lo:[0,1] neg_hi:[0,1]
	v_mov_b32_e32 v14, v31
	s_waitcnt lgkmcnt(1)
	v_add_f32_e32 v9, v11, v9
	ds_bpermute_b32 v11, v65, v60
	v_pk_add_f32 v[34:35], v[30:31], v[14:15]
	v_pk_add_f32 v[30:31], v[30:31], v[14:15] neg_lo:[0,1] neg_hi:[0,1]
	v_mov_b32_e32 v14, v91
	v_cndmask_b32_e64 v17, -v58, v58, s[30:31]
	v_pk_add_f32 v[26:27], v[90:91], v[14:15]
	v_pk_add_f32 v[22:23], v[90:91], v[14:15] neg_lo:[0,1] neg_hi:[0,1]
	v_mov_b32_e32 v14, v53
	s_waitcnt lgkmcnt(1)
	v_add_f32_e32 v13, v17, v13
	ds_bpermute_b32 v17, v65, v62
	v_pk_add_f32 v[18:19], v[52:53], v[14:15]
	v_pk_add_f32 v[14:15], v[52:53], v[14:15] neg_lo:[0,1] neg_hi:[0,1]
	v_cndmask_b32_e64 v15, -v60, v60, s[30:31]
	s_waitcnt lgkmcnt(1)
	v_add_f32_e32 v11, v15, v11
	ds_bpermute_b32 v15, v65, v120
	v_cndmask_b32_e64 v21, -v62, v62, s[30:31]
	s_waitcnt lgkmcnt(1)
	v_add_f32_e32 v17, v21, v17
	ds_bpermute_b32 v21, v65, v92
	;; [unrolled: 4-line block ×57, first 2 shown]
	v_cndmask_b32_e64 v2, -v2, v2, s[30:31]
	s_waitcnt lgkmcnt(1)
	v_add_f32_e32 v2, v2, v62
	v_xor_b32_e32 v62, 2, v1
	ds_bpermute_b32 v73, v65, v14
	v_cmp_lt_i32_e64 s[4:5], v62, v7
	v_cndmask_b32_e64 v18, -v18, v18, s[30:31]
	v_cndmask_b32_e64 v62, v1, v62, s[4:5]
	s_waitcnt lgkmcnt(1)
	v_add_f32_e32 v18, v18, v67
	v_lshlrev_b32_e32 v67, 2, v62
	ds_bpermute_b32 v62, v67, v3
	v_cndmask_b32_e64 v14, -v14, v14, s[30:31]
	s_waitcnt lgkmcnt(1)
	v_add_f32_e32 v14, v14, v73
	v_and_b32_e32 v73, 2, v0
	v_cmp_eq_u32_e64 s[34:35], 0, v73
	v_cndmask_b32_e64 v3, -v3, v3, s[34:35]
	s_waitcnt lgkmcnt(0)
	v_add_f32_e32 v3, v3, v62
	ds_bpermute_b32 v62, v67, v5
	v_cndmask_b32_e64 v5, -v5, v5, s[34:35]
	ds_bpermute_b32 v73, v67, v11
	v_cndmask_b32_e64 v11, -v11, v11, s[34:35]
	ds_bpermute_b32 v74, v67, v9
	s_waitcnt lgkmcnt(2)
	v_add_f32_e32 v5, v5, v62
	ds_bpermute_b32 v62, v67, v13
	v_cndmask_b32_e64 v13, -v13, v13, s[34:35]
	s_waitcnt lgkmcnt(2)
	v_add_f32_e32 v11, v11, v73
	ds_bpermute_b32 v73, v67, v15
	v_cndmask_b32_e64 v15, -v15, v15, s[34:35]
	;; [unrolled: 4-line block ×59, first 2 shown]
	v_add_f32_e32 v9, v9, v74
	ds_bpermute_b32 v74, v67, v14
	v_cndmask_b32_e64 v18, -v18, v18, s[34:35]
	s_waitcnt lgkmcnt(1)
	v_add_f32_e32 v2, v2, v62
	v_xor_b32_e32 v62, 4, v1
	v_cmp_lt_i32_e64 s[4:5], v62, v7
	v_cndmask_b32_e64 v62, v1, v62, s[4:5]
	v_lshlrev_b32_e32 v62, 2, v62
	v_add_f32_e32 v18, v18, v73
	ds_bpermute_b32 v73, v62, v3
	v_cndmask_b32_e64 v14, -v14, v14, s[34:35]
	s_waitcnt lgkmcnt(1)
	v_add_f32_e32 v14, v14, v74
	v_and_b32_e32 v74, 4, v0
	v_cmp_eq_u32_e64 s[4:5], 0, v74
	v_cndmask_b32_e64 v3, -v3, v3, s[4:5]
	s_waitcnt lgkmcnt(0)
	v_add_f32_e32 v3, v3, v73
	ds_bpermute_b32 v73, v62, v5
	ds_bpermute_b32 v74, v62, v11
	v_cndmask_b32_e64 v5, -v5, v5, s[4:5]
	v_cndmask_b32_e64 v11, -v11, v11, s[4:5]
	ds_bpermute_b32 v75, v62, v9
	s_waitcnt lgkmcnt(2)
	v_add_f32_e32 v5, v5, v73
	ds_bpermute_b32 v73, v62, v13
	s_waitcnt lgkmcnt(2)
	v_add_f32_e32 v11, v11, v74
	ds_bpermute_b32 v74, v62, v15
	v_cndmask_b32_e64 v13, -v13, v13, s[4:5]
	v_cndmask_b32_e64 v15, -v15, v15, s[4:5]
	s_waitcnt lgkmcnt(1)
	v_add_f32_e32 v73, v13, v73
	ds_bpermute_b32 v13, v62, v17
	s_waitcnt lgkmcnt(1)
	v_add_f32_e32 v15, v15, v74
	ds_bpermute_b32 v74, v62, v19
	v_cndmask_b32_e64 v17, -v17, v17, s[4:5]
	v_cndmask_b32_e64 v19, -v19, v19, s[4:5]
	s_waitcnt lgkmcnt(1)
	v_add_f32_e32 v17, v17, v13
	ds_bpermute_b32 v13, v62, v21
	v_cndmask_b32_e64 v9, -v9, v9, s[4:5]
	s_waitcnt lgkmcnt(1)
	v_add_f32_e32 v19, v19, v74
	ds_bpermute_b32 v74, v62, v23
	v_cndmask_b32_e64 v21, -v21, v21, s[4:5]
	v_add_f32_e32 v9, v9, v75
	s_waitcnt lgkmcnt(1)
	v_add_f32_e32 v75, v21, v13
	ds_bpermute_b32 v13, v62, v25
	v_cndmask_b32_e64 v21, -v23, v23, s[4:5]
	s_waitcnt lgkmcnt(1)
	v_add_f32_e32 v74, v21, v74
	ds_bpermute_b32 v21, v62, v27
	v_cndmask_b32_e64 v23, -v25, v25, s[4:5]
	;; [unrolled: 4-line block ×37, first 2 shown]
	s_waitcnt lgkmcnt(1)
	v_add_f32_e32 v57, v23, v21
	v_cndmask_b32_e64 v23, -v24, v24, s[4:5]
	ds_bpermute_b32 v21, v62, v46
	s_waitcnt lgkmcnt(1)
	v_add_f32_e32 v101, v23, v13
	ds_bpermute_b32 v13, v62, v20
	v_cndmask_b32_e64 v20, -v20, v20, s[4:5]
	v_cndmask_b32_e64 v23, -v46, v46, s[4:5]
	s_waitcnt lgkmcnt(1)
	v_add_f32_e32 v102, v23, v21
	ds_bpermute_b32 v21, v62, v42
	s_waitcnt lgkmcnt(1)
	v_add_f32_e32 v100, v20, v13
	ds_bpermute_b32 v13, v62, v16
	v_cndmask_b32_e64 v16, -v16, v16, s[4:5]
	v_cndmask_b32_e64 v20, -v42, v42, s[4:5]
	s_waitcnt lgkmcnt(1)
	v_add_f32_e32 v99, v20, v21
	;; [unrolled: 8-line block ×7, first 2 shown]
	ds_bpermute_b32 v10, v62, v14
	s_waitcnt lgkmcnt(1)
	v_add_f32_e32 v89, v4, v6
	ds_bpermute_b32 v4, v62, v2
	v_cndmask_b32_e64 v2, -v2, v2, s[4:5]
	v_cndmask_b32_e64 v6, -v18, v18, s[4:5]
	ds_bpermute_b32 v8, v62, v18
	v_xor_b32_e32 v24, 16, v1
	s_waitcnt lgkmcnt(1)
	v_add_f32_e32 v91, v2, v4
	v_xor_b32_e32 v4, 8, v1
	v_cndmask_b32_e64 v2, -v14, v14, s[4:5]
	v_cmp_lt_i32_e64 s[4:5], v4, v7
	v_cndmask_b32_e64 v4, v1, v4, s[4:5]
	v_lshlrev_b32_e32 v92, 2, v4
	v_add_f32_e32 v88, v2, v10
	v_and_b32_e32 v2, 8, v0
	ds_bpermute_b32 v12, v92, v3
	ds_bpermute_b32 v13, v92, v9
	v_cmp_eq_u32_e64 s[40:41], 0, v2
	ds_bpermute_b32 v37, v92, v15
	v_cndmask_b32_e64 v51, -v15, v15, s[40:41]
	ds_bpermute_b32 v32, v92, v75
	ds_bpermute_b32 v33, v92, v74
	;; [unrolled: 1-line block ×4, first 2 shown]
	s_waitcnt lgkmcnt(7)
	v_add_f32_e32 v90, v6, v8
	v_cndmask_b32_e64 v21, -v9, v9, s[40:41]
	ds_bpermute_b32 v52, v92, v17
	v_cndmask_b32_e64 v54, -v17, v17, s[40:41]
	ds_bpermute_b32 v16, v92, v76
	ds_bpermute_b32 v17, v92, v31
	;; [unrolled: 1-line block ×4, first 2 shown]
	v_cmp_lt_i32_e64 s[4:5], v24, v7
	v_cndmask_b32_e64 v20, -v3, v3, s[40:41]
	v_cndmask_b32_e64 v24, v1, v24, s[4:5]
	v_lshlrev_b32_e32 v86, 2, v24
	s_waitcnt lgkmcnt(10)
	v_pk_add_f32 v[12:13], v[20:21], v[12:13]
	ds_bpermute_b32 v22, v92, v5
	ds_bpermute_b32 v23, v92, v11
	v_cndmask_b32_e64 v34, -v75, v75, s[40:41]
	v_cndmask_b32_e64 v35, -v74, v74, s[40:41]
	;; [unrolled: 1-line block ×4, first 2 shown]
	ds_bpermute_b32 v20, v86, v12
	ds_bpermute_b32 v21, v86, v13
	v_cndmask_b32_e64 v29, -v11, v11, s[40:41]
	ds_bpermute_b32 v53, v92, v19
	v_cndmask_b32_e64 v55, -v19, v19, s[40:41]
	v_cndmask_b32_e64 v18, -v76, v76, s[40:41]
	;; [unrolled: 1-line block ×5, first 2 shown]
	s_waitcnt lgkmcnt(12)
	v_pk_add_f32 v[32:33], v[34:35], v[32:33]
	s_waitcnt lgkmcnt(10)
	v_pk_add_f32 v[14:15], v[26:27], v[14:15]
	v_and_b32_e32 v6, 16, v0
	ds_bpermute_b32 v34, v86, v32
	ds_bpermute_b32 v35, v86, v33
	;; [unrolled: 1-line block ×4, first 2 shown]
	s_waitcnt lgkmcnt(11)
	v_pk_add_f32 v[16:17], v[18:19], v[16:17]
	s_waitcnt lgkmcnt(9)
	v_pk_add_f32 v[8:9], v[10:11], v[8:9]
	v_cmp_eq_u32_e64 s[36:37], 0, v6
	v_xor_b32_e32 v6, 32, v1
	ds_bpermute_b32 v18, v86, v16
	ds_bpermute_b32 v19, v86, v17
	;; [unrolled: 1-line block ×4, first 2 shown]
	v_cndmask_b32_e64 v28, -v5, v5, s[40:41]
	v_cndmask_b32_e64 v13, -v13, v13, s[36:37]
	;; [unrolled: 1-line block ×3, first 2 shown]
	v_cmp_lt_i32_e64 s[4:5], v6, v7
	v_cndmask_b32_e64 v1, v1, v6, s[4:5]
	s_waitcnt lgkmcnt(9)
	v_pk_add_f32 v[6:7], v[12:13], v[20:21]
	v_pk_add_f32 v[20:21], v[28:29], v[22:23]
	v_lshlrev_b32_e32 v87, 2, v1
	ds_bpermute_b32 v22, v86, v20
	ds_bpermute_b32 v23, v86, v21
	v_cndmask_b32_e64 v33, -v33, v33, s[36:37]
	v_cndmask_b32_e64 v32, -v32, v32, s[36:37]
	;; [unrolled: 1-line block ×4, first 2 shown]
	ds_bpermute_b32 v36, v92, v73
	ds_bpermute_b32 v12, v87, v6
	;; [unrolled: 1-line block ×3, first 2 shown]
	s_waitcnt lgkmcnt(11)
	v_pk_add_f32 v[32:33], v[32:33], v[34:35]
	s_waitcnt lgkmcnt(9)
	v_pk_add_f32 v[14:15], v[14:15], v[26:27]
	v_cndmask_b32_e64 v17, -v17, v17, s[36:37]
	v_cndmask_b32_e64 v16, -v16, v16, s[36:37]
	;; [unrolled: 1-line block ×4, first 2 shown]
	ds_bpermute_b32 v34, v87, v32
	ds_bpermute_b32 v35, v87, v33
	;; [unrolled: 1-line block ×4, first 2 shown]
	s_waitcnt lgkmcnt(11)
	v_pk_add_f32 v[16:17], v[16:17], v[18:19]
	s_waitcnt lgkmcnt(9)
	v_pk_add_f32 v[8:9], v[8:9], v[10:11]
	v_and_b32_e32 v30, 32, v0
	ds_bpermute_b32 v18, v87, v16
	ds_bpermute_b32 v19, v87, v17
	ds_bpermute_b32 v10, v87, v8
	ds_bpermute_b32 v11, v87, v9
	ds_bpermute_b32 v2, v92, v79
	ds_bpermute_b32 v3, v92, v39
	ds_bpermute_b32 v24, v92, v41
	ds_bpermute_b32 v25, v92, v80
	v_cmp_eq_u32_e64 s[38:39], 0, v30
	v_cndmask_b32_e64 v21, -v21, v21, s[36:37]
	v_cndmask_b32_e64 v20, -v20, v20, s[36:37]
	;; [unrolled: 1-line block ×5, first 2 shown]
	s_waitcnt lgkmcnt(14)
	v_pk_add_f32 v[20:21], v[20:21], v[22:23]
	ds_bpermute_b32 v22, v87, v20
	ds_bpermute_b32 v23, v87, v21
	v_cndmask_b32_e64 v29, -v21, v21, s[38:39]
	v_cndmask_b32_e64 v28, -v20, v20, s[38:39]
	s_waitcnt lgkmcnt(14)
	v_pk_add_f32 v[20:21], v[6:7], v[12:13]
	v_lshrrev_b32_e32 v1, 6, v0
	v_pk_add_f32 v[6:7], v[50:51], v[36:37]
	v_cndmask_b32_e64 v33, -v33, v33, s[38:39]
	v_cndmask_b32_e64 v32, -v32, v32, s[38:39]
	;; [unrolled: 1-line block ×4, first 2 shown]
	v_xor_b32_e32 v1, v1, v0
	s_waitcnt lgkmcnt(12)
	v_pk_add_f32 v[32:33], v[32:33], v[34:35]
	s_waitcnt lgkmcnt(10)
	v_pk_add_f32 v[34:35], v[50:51], v[26:27]
	v_cndmask_b32_e64 v17, -v17, v17, s[38:39]
	v_cndmask_b32_e64 v16, -v16, v16, s[38:39]
	;; [unrolled: 1-line block ×8, first 2 shown]
	v_lshl_add_u32 v69, v1, 4, 0
	s_waitcnt lgkmcnt(8)
	v_pk_add_f32 v[8:9], v[16:17], v[18:19]
	s_waitcnt lgkmcnt(6)
	v_pk_add_f32 v[10:11], v[26:27], v[10:11]
	s_waitcnt lgkmcnt(0)
	s_barrier
	ds_write_b128 v69, v[8:11] offset:12288
	v_pk_add_f32 v[2:3], v[4:5], v[2:3]
	v_pk_add_f32 v[8:9], v[40:41], v[24:25]
	ds_bpermute_b32 v80, v92, v45
	ds_bpermute_b32 v81, v92, v47
	;; [unrolled: 1-line block ×6, first 2 shown]
	v_and_b32_e32 v1, 3, v0
	v_lshrrev_b32_e32 v0, 2, v0
	v_cndmask_b32_e64 v82, -v45, v45, s[40:41]
	v_cndmask_b32_e64 v83, -v47, v47, s[40:41]
	;; [unrolled: 1-line block ×6, first 2 shown]
	v_lshl_or_b32 v0, v1, 6, v0
	s_waitcnt lgkmcnt(2)
	v_pk_add_f32 v[2:3], v[2:3], v[4:5]
	s_waitcnt lgkmcnt(0)
	v_pk_add_f32 v[8:9], v[8:9], v[10:11]
	ds_bpermute_b32 v16, v92, v95
	v_cndmask_b32_e64 v24, -v95, v95, s[40:41]
	v_xor_b32_e32 v95, v0, v1
	v_pk_add_f32 v[0:1], v[82:83], v[80:81]
	ds_bpermute_b32 v4, v87, v2
	ds_bpermute_b32 v5, v87, v3
	;; [unrolled: 1-line block ×8, first 2 shown]
	v_cndmask_b32_e64 v3, -v3, v3, s[38:39]
	v_cndmask_b32_e64 v2, -v2, v2, s[38:39]
	;; [unrolled: 1-line block ×8, first 2 shown]
	s_waitcnt lgkmcnt(6)
	v_pk_add_f32 v[2:3], v[2:3], v[4:5]
	s_waitcnt lgkmcnt(4)
	v_pk_add_f32 v[4:5], v[8:9], v[10:11]
	;; [unrolled: 2-line block ×3, first 2 shown]
	ds_write_b128 v69, v[2:5] offset:16384
	ds_bpermute_b32 v2, v87, v0
	ds_bpermute_b32 v3, v87, v1
	s_waitcnt lgkmcnt(3)
	v_pk_add_f32 v[4:5], v[46:47], v[44:45]
	ds_bpermute_b32 v44, v86, v4
	ds_bpermute_b32 v45, v86, v5
	;; [unrolled: 1-line block ×4, first 2 shown]
	v_cndmask_b32_e64 v1, -v1, v1, s[38:39]
	v_cndmask_b32_e64 v0, -v0, v0, s[38:39]
	s_waitcnt lgkmcnt(4)
	v_pk_add_f32 v[0:1], v[0:1], v[2:3]
	v_cndmask_b32_e64 v3, -v5, v5, s[36:37]
	v_cndmask_b32_e64 v2, -v4, v4, s[36:37]
	s_waitcnt lgkmcnt(2)
	v_pk_add_f32 v[2:3], v[2:3], v[44:45]
	v_cndmask_b32_e64 v38, -v105, v105, s[40:41]
	v_cndmask_b32_e64 v39, -v106, v106, s[40:41]
	ds_bpermute_b32 v4, v87, v2
	ds_bpermute_b32 v5, v87, v3
	v_pk_add_f32 v[22:23], v[28:29], v[22:23]
	s_waitcnt lgkmcnt(2)
	v_pk_add_f32 v[30:31], v[38:39], v[30:31]
	ds_write_b128 v69, v[20:23]
	v_pk_add_f32 v[20:21], v[54:55], v[52:53]
	ds_bpermute_b32 v38, v86, v30
	ds_bpermute_b32 v39, v86, v31
	;; [unrolled: 1-line block ×8, first 2 shown]
	v_cndmask_b32_e64 v3, -v3, v3, s[38:39]
	v_cndmask_b32_e64 v2, -v2, v2, s[38:39]
	s_waitcnt lgkmcnt(9)
	v_pk_add_f32 v[2:3], v[2:3], v[4:5]
	ds_write_b128 v69, v[0:3] offset:20480
	v_cndmask_b32_e64 v1, -v31, v31, s[36:37]
	v_cndmask_b32_e64 v0, -v30, v30, s[36:37]
	;; [unrolled: 1-line block ×8, first 2 shown]
	s_waitcnt lgkmcnt(7)
	v_pk_add_f32 v[0:1], v[0:1], v[38:39]
	s_waitcnt lgkmcnt(5)
	v_pk_add_f32 v[6:7], v[6:7], v[12:13]
	s_waitcnt lgkmcnt(3)
	v_pk_add_f32 v[20:21], v[20:21], v[22:23]
	ds_bpermute_b32 v2, v87, v0
	ds_bpermute_b32 v3, v87, v1
	s_waitcnt lgkmcnt(3)
	v_pk_add_f32 v[4:5], v[54:55], v[52:53]
	ds_bpermute_b32 v12, v87, v6
	ds_bpermute_b32 v13, v87, v7
	;; [unrolled: 1-line block ×8, first 2 shown]
	v_cndmask_b32_e64 v1, -v1, v1, s[38:39]
	v_cndmask_b32_e64 v0, -v0, v0, s[38:39]
	;; [unrolled: 1-line block ×6, first 2 shown]
	s_waitcnt lgkmcnt(8)
	v_pk_add_f32 v[0:1], v[0:1], v[2:3]
	v_cndmask_b32_e64 v3, -v5, v5, s[36:37]
	v_cndmask_b32_e64 v2, -v4, v4, s[36:37]
	s_waitcnt lgkmcnt(6)
	v_pk_add_f32 v[58:59], v[6:7], v[12:13]
	s_waitcnt lgkmcnt(4)
	v_pk_add_f32 v[60:61], v[20:21], v[22:23]
	ds_bpermute_b32 v28, v92, v109
	ds_bpermute_b32 v29, v92, v110
	s_waitcnt lgkmcnt(4)
	v_pk_add_f32 v[2:3], v[2:3], v[30:31]
	ds_bpermute_b32 v20, v92, v111
	ds_bpermute_b32 v21, v92, v112
	ds_write_b128 v69, v[58:61] offset:4096
	v_cndmask_b32_e64 v58, -v120, v120, s[40:41]
	v_cndmask_b32_e64 v59, -v121, v121, s[40:41]
	ds_bpermute_b32 v4, v87, v2
	ds_bpermute_b32 v5, v87, v3
	s_waitcnt lgkmcnt(7)
	v_pk_add_f32 v[50:51], v[58:59], v[50:51]
	ds_bpermute_b32 v58, v86, v50
	ds_bpermute_b32 v59, v86, v51
	v_cndmask_b32_e64 v36, -v109, v109, s[40:41]
	v_cndmask_b32_e64 v37, -v110, v110, s[40:41]
	ds_bpermute_b32 v60, v92, v48
	ds_bpermute_b32 v61, v92, v56
	v_cndmask_b32_e64 v22, -v111, v111, s[40:41]
	v_cndmask_b32_e64 v23, -v112, v112, s[40:41]
	;; [unrolled: 1-line block ×4, first 2 shown]
	s_waitcnt lgkmcnt(9)
	v_pk_add_f32 v[28:29], v[36:37], v[28:29]
	ds_bpermute_b32 v30, v86, v28
	ds_bpermute_b32 v31, v86, v29
	s_waitcnt lgkmcnt(6)
	v_pk_add_f32 v[2:3], v[2:3], v[4:5]
	v_pk_add_f32 v[4:5], v[22:23], v[20:21]
	ds_bpermute_b32 v20, v86, v4
	ds_bpermute_b32 v21, v86, v5
	v_cndmask_b32_e64 v51, -v51, v51, s[36:37]
	v_cndmask_b32_e64 v50, -v50, v50, s[36:37]
	ds_bpermute_b32 v15, v92, v63
	v_cndmask_b32_e64 v79, -v63, v63, s[40:41]
	v_cndmask_b32_e64 v62, -v48, v48, s[40:41]
	v_cndmask_b32_e64 v63, -v56, v56, s[40:41]
	s_waitcnt lgkmcnt(7)
	v_pk_add_f32 v[50:51], v[50:51], v[58:59]
	ds_bpermute_b32 v48, v92, v49
	v_cndmask_b32_e64 v56, -v49, v49, s[40:41]
	ds_bpermute_b32 v49, v92, v57
	ds_bpermute_b32 v58, v87, v50
	;; [unrolled: 1-line block ×3, first 2 shown]
	s_waitcnt lgkmcnt(9)
	v_pk_add_f32 v[60:61], v[62:63], v[60:61]
	ds_write_b128 v69, v[0:3] offset:24576
	v_cndmask_b32_e64 v1, -v29, v29, s[36:37]
	v_cndmask_b32_e64 v0, -v28, v28, s[36:37]
	ds_bpermute_b32 v62, v86, v60
	ds_bpermute_b32 v63, v86, v61
	s_waitcnt lgkmcnt(10)
	v_pk_add_f32 v[0:1], v[0:1], v[30:31]
	v_cndmask_b32_e64 v5, -v5, v5, s[36:37]
	v_cndmask_b32_e64 v4, -v4, v4, s[36:37]
	ds_bpermute_b32 v2, v87, v0
	ds_bpermute_b32 v3, v87, v1
	s_waitcnt lgkmcnt(10)
	v_pk_add_f32 v[4:5], v[4:5], v[20:21]
	v_cndmask_b32_e64 v57, -v57, v57, s[40:41]
	ds_bpermute_b32 v20, v87, v4
	ds_bpermute_b32 v21, v87, v5
	v_cndmask_b32_e64 v51, -v51, v51, s[38:39]
	v_cndmask_b32_e64 v50, -v50, v50, s[38:39]
	ds_bpermute_b32 v6, v92, v113
	ds_bpermute_b32 v7, v92, v114
	ds_write_b128 v69, v[32:35] offset:8192
	ds_bpermute_b32 v32, v92, v101
	ds_bpermute_b32 v33, v92, v102
	s_waitcnt lgkmcnt(12)
	v_pk_add_f32 v[58:59], v[50:51], v[58:59]
	v_cndmask_b32_e64 v51, -v61, v61, s[36:37]
	v_cndmask_b32_e64 v50, -v60, v60, s[36:37]
	v_pk_add_f32 v[48:49], v[56:57], v[48:49]
	ds_bpermute_b32 v14, v92, v115
	s_waitcnt lgkmcnt(10)
	v_pk_add_f32 v[50:51], v[50:51], v[62:63]
	ds_bpermute_b32 v56, v86, v48
	ds_bpermute_b32 v57, v86, v49
	v_cndmask_b32_e64 v1, -v1, v1, s[38:39]
	v_cndmask_b32_e64 v0, -v0, v0, s[38:39]
	ds_bpermute_b32 v60, v87, v50
	ds_bpermute_b32 v61, v87, v51
	s_waitcnt lgkmcnt(12)
	v_pk_add_f32 v[0:1], v[0:1], v[2:3]
	v_cndmask_b32_e64 v3, -v5, v5, s[38:39]
	v_cndmask_b32_e64 v2, -v4, v4, s[38:39]
	;; [unrolled: 1-line block ×6, first 2 shown]
	s_waitcnt lgkmcnt(10)
	v_pk_add_f32 v[2:3], v[2:3], v[20:21]
	v_cndmask_b32_e64 v78, -v115, v115, s[40:41]
	ds_write_b128 v69, v[0:3] offset:28672
	s_waitcnt lgkmcnt(9)
	v_pk_add_f32 v[0:1], v[12:13], v[6:7]
	v_cndmask_b32_e64 v49, -v49, v49, s[36:37]
	v_cndmask_b32_e64 v48, -v48, v48, s[36:37]
	s_waitcnt lgkmcnt(6)
	v_pk_add_f32 v[34:35], v[34:35], v[32:33]
	ds_bpermute_b32 v18, v92, v100
	ds_bpermute_b32 v19, v92, v99
	;; [unrolled: 1-line block ×4, first 2 shown]
	s_waitcnt lgkmcnt(9)
	v_pk_add_f32 v[12:13], v[78:79], v[14:15]
	v_cndmask_b32_e64 v51, -v51, v51, s[38:39]
	v_cndmask_b32_e64 v50, -v50, v50, s[38:39]
	s_waitcnt lgkmcnt(7)
	v_pk_add_f32 v[48:49], v[48:49], v[56:57]
	ds_bpermute_b32 v56, v86, v34
	ds_bpermute_b32 v57, v86, v35
	;; [unrolled: 1-line block ×4, first 2 shown]
	s_waitcnt lgkmcnt(9)
	v_pk_add_f32 v[60:61], v[50:51], v[60:61]
	ds_bpermute_b32 v50, v87, v48
	ds_bpermute_b32 v51, v87, v49
	v_cndmask_b32_e64 v26, -v100, v100, s[40:41]
	v_cndmask_b32_e64 v27, -v99, v99, s[40:41]
	;; [unrolled: 1-line block ×6, first 2 shown]
	s_waitcnt lgkmcnt(6)
	v_pk_add_f32 v[0:1], v[0:1], v[2:3]
	v_cndmask_b32_e64 v13, -v13, v13, s[36:37]
	v_cndmask_b32_e64 v12, -v12, v12, s[36:37]
	;; [unrolled: 1-line block ×4, first 2 shown]
	s_waitcnt lgkmcnt(4)
	v_pk_add_f32 v[34:35], v[34:35], v[56:57]
	v_pk_add_f32 v[18:19], v[26:27], v[18:19]
	ds_bpermute_b32 v2, v87, v0
	ds_bpermute_b32 v3, v87, v1
	s_waitcnt lgkmcnt(4)
	v_pk_add_f32 v[12:13], v[12:13], v[14:15]
	s_waitcnt lgkmcnt(2)
	v_pk_add_f32 v[32:33], v[48:49], v[50:51]
	ds_bpermute_b32 v48, v87, v34
	ds_bpermute_b32 v49, v87, v35
	;; [unrolled: 1-line block ×8, first 2 shown]
	v_cndmask_b32_e64 v1, -v1, v1, s[38:39]
	v_cndmask_b32_e64 v0, -v0, v0, s[38:39]
	;; [unrolled: 1-line block ×8, first 2 shown]
	v_lshl_add_u32 v100, v95, 4, 0
	s_waitcnt lgkmcnt(8)
	v_pk_add_f32 v[78:79], v[0:1], v[2:3]
	v_cndmask_b32_e64 v1, -v13, v13, s[38:39]
	v_cndmask_b32_e64 v0, -v12, v12, s[38:39]
	s_waitcnt lgkmcnt(6)
	v_pk_add_f32 v[34:35], v[34:35], v[48:49]
	s_waitcnt lgkmcnt(4)
	v_pk_add_f32 v[18:19], v[18:19], v[26:27]
	ds_bpermute_b32 v17, v92, v96
	s_waitcnt lgkmcnt(0)
	s_barrier
	ds_read_b128 v[52:55], v100
	ds_read_b128 v[44:47], v100 offset:4096
	ds_read_b128 v[36:39], v100 offset:8192
	;; [unrolled: 1-line block ×5, first 2 shown]
	v_pk_add_f32 v[80:81], v[0:1], v[14:15]
	ds_read_b128 v[12:15], v100 offset:24576
	ds_read_b128 v[0:3], v100 offset:28672
	s_waitcnt lgkmcnt(0)
	s_barrier
	ds_write_b128 v69, v[32:35] offset:12288
	ds_bpermute_b32 v26, v87, v18
	ds_bpermute_b32 v27, v87, v19
	v_pk_add_f32 v[34:35], v[42:43], v[40:41]
	ds_bpermute_b32 v40, v86, v34
	ds_bpermute_b32 v41, v86, v35
	v_cndmask_b32_e64 v25, -v96, v96, s[40:41]
	v_cndmask_b32_e64 v19, -v19, v19, s[38:39]
	;; [unrolled: 1-line block ×3, first 2 shown]
	ds_bpermute_b32 v8, v92, v97
	ds_bpermute_b32 v9, v92, v98
	s_waitcnt lgkmcnt(4)
	v_pk_add_f32 v[32:33], v[18:19], v[26:27]
	v_cndmask_b32_e64 v19, -v35, v35, s[36:37]
	v_cndmask_b32_e64 v18, -v34, v34, s[36:37]
	v_pk_add_f32 v[16:17], v[24:25], v[16:17]
	s_waitcnt lgkmcnt(2)
	v_pk_add_f32 v[18:19], v[18:19], v[40:41]
	ds_bpermute_b32 v24, v86, v16
	ds_bpermute_b32 v25, v86, v17
	;; [unrolled: 1-line block ×4, first 2 shown]
	v_cndmask_b32_e64 v10, -v97, v97, s[40:41]
	v_cndmask_b32_e64 v11, -v98, v98, s[40:41]
	;; [unrolled: 1-line block ×4, first 2 shown]
	s_waitcnt lgkmcnt(4)
	v_pk_add_f32 v[10:11], v[10:11], v[8:9]
	v_cndmask_b32_e64 v19, -v19, v19, s[38:39]
	v_cndmask_b32_e64 v18, -v18, v18, s[38:39]
	s_waitcnt lgkmcnt(2)
	v_pk_add_f32 v[16:17], v[16:17], v[24:25]
	ds_bpermute_b32 v24, v86, v10
	ds_bpermute_b32 v25, v86, v11
	s_waitcnt lgkmcnt(2)
	v_pk_add_f32 v[34:35], v[18:19], v[26:27]
	ds_bpermute_b32 v18, v87, v16
	ds_bpermute_b32 v19, v87, v17
	ds_write_b128 v69, v[78:81]
	ds_bpermute_b32 v78, v92, v94
	ds_bpermute_b32 v79, v92, v93
	;; [unrolled: 1-line block ×6, first 2 shown]
	v_cndmask_b32_e64 v11, -v11, v11, s[36:37]
	v_cndmask_b32_e64 v10, -v10, v10, s[36:37]
	;; [unrolled: 1-line block ×4, first 2 shown]
	s_waitcnt lgkmcnt(9)
	v_pk_add_f32 v[10:11], v[10:11], v[24:25]
	v_cndmask_b32_e64 v80, -v94, v94, s[40:41]
	v_cndmask_b32_e64 v81, -v93, v93, s[40:41]
	s_waitcnt lgkmcnt(7)
	v_pk_add_f32 v[8:9], v[16:17], v[18:19]
	ds_bpermute_b32 v16, v87, v10
	ds_bpermute_b32 v17, v87, v11
	v_cndmask_b32_e64 v76, -v116, v116, s[40:41]
	v_cndmask_b32_e64 v77, -v117, v117, s[40:41]
	s_waitcnt lgkmcnt(6)
	v_pk_add_f32 v[18:19], v[80:81], v[78:79]
	v_cndmask_b32_e64 v72, -v118, v118, s[40:41]
	v_cndmask_b32_e64 v73, -v119, v119, s[40:41]
	s_waitcnt lgkmcnt(4)
	v_pk_add_f32 v[74:75], v[76:77], v[74:75]
	ds_bpermute_b32 v24, v86, v18
	ds_bpermute_b32 v25, v86, v19
	;; [unrolled: 1-line block ×4, first 2 shown]
	s_waitcnt lgkmcnt(6)
	v_pk_add_f32 v[70:71], v[72:73], v[70:71]
	ds_bpermute_b32 v82, v92, v84
	ds_bpermute_b32 v83, v92, v85
	;; [unrolled: 1-line block ×4, first 2 shown]
	v_cndmask_b32_e64 v11, -v11, v11, s[38:39]
	v_cndmask_b32_e64 v10, -v10, v10, s[38:39]
	s_waitcnt lgkmcnt(8)
	v_pk_add_f32 v[10:11], v[10:11], v[16:17]
	ds_write_b128 v69, v[8:11] offset:20480
	v_cndmask_b32_e64 v9, -v19, v19, s[36:37]
	v_cndmask_b32_e64 v8, -v18, v18, s[36:37]
	;; [unrolled: 1-line block ×6, first 2 shown]
	s_waitcnt lgkmcnt(7)
	v_pk_add_f32 v[8:9], v[8:9], v[24:25]
	s_waitcnt lgkmcnt(5)
	v_pk_add_f32 v[74:75], v[74:75], v[76:77]
	v_cndmask_b32_e64 v71, -v71, v71, s[36:37]
	v_cndmask_b32_e64 v70, -v70, v70, s[36:37]
	ds_bpermute_b32 v10, v87, v8
	ds_bpermute_b32 v11, v87, v9
	s_waitcnt lgkmcnt(5)
	v_pk_add_f32 v[16:17], v[84:85], v[82:83]
	ds_bpermute_b32 v76, v87, v74
	ds_bpermute_b32 v77, v87, v75
	s_waitcnt lgkmcnt(5)
	v_pk_add_f32 v[70:71], v[70:71], v[72:73]
	ds_bpermute_b32 v18, v86, v16
	ds_bpermute_b32 v19, v86, v17
	;; [unrolled: 1-line block ×4, first 2 shown]
	v_cndmask_b32_e64 v9, -v9, v9, s[38:39]
	v_cndmask_b32_e64 v8, -v8, v8, s[38:39]
	v_cndmask_b32_e64 v75, -v75, v75, s[38:39]
	v_cndmask_b32_e64 v74, -v74, v74, s[38:39]
	s_waitcnt lgkmcnt(6)
	v_pk_add_f32 v[8:9], v[8:9], v[10:11]
	v_cndmask_b32_e64 v11, -v17, v17, s[36:37]
	v_cndmask_b32_e64 v10, -v16, v16, s[36:37]
	v_cndmask_b32_e64 v71, -v71, v71, s[38:39]
	v_cndmask_b32_e64 v70, -v70, v70, s[38:39]
	s_waitcnt lgkmcnt(4)
	v_pk_add_f32 v[94:95], v[74:75], v[76:77]
	ds_bpermute_b32 v74, v92, v89
	ds_bpermute_b32 v75, v92, v90
	s_waitcnt lgkmcnt(4)
	v_pk_add_f32 v[10:11], v[10:11], v[18:19]
	s_waitcnt lgkmcnt(2)
	v_pk_add_f32 v[96:97], v[70:71], v[72:73]
	ds_bpermute_b32 v70, v92, v91
	ds_bpermute_b32 v71, v92, v88
	;; [unrolled: 1-line block ×4, first 2 shown]
	v_cndmask_b32_e64 v76, -v89, v89, s[40:41]
	v_cndmask_b32_e64 v77, -v90, v90, s[40:41]
	;; [unrolled: 1-line block ×6, first 2 shown]
	s_waitcnt lgkmcnt(4)
	v_pk_add_f32 v[18:19], v[76:77], v[74:75]
	ds_bpermute_b32 v24, v86, v18
	ds_bpermute_b32 v25, v86, v19
	s_waitcnt lgkmcnt(2)
	v_pk_add_f32 v[10:11], v[10:11], v[16:17]
	v_pk_add_f32 v[16:17], v[72:73], v[70:71]
	ds_write_b128 v69, v[8:11] offset:24576
	v_cndmask_b32_e64 v9, -v19, v19, s[36:37]
	v_cndmask_b32_e64 v8, -v18, v18, s[36:37]
	ds_bpermute_b32 v18, v86, v16
	ds_bpermute_b32 v19, v86, v17
	;; [unrolled: 1-line block ×6, first 2 shown]
	s_waitcnt lgkmcnt(7)
	v_pk_add_f32 v[8:9], v[8:9], v[24:25]
	v_cndmask_b32_e64 v17, -v17, v17, s[36:37]
	v_cndmask_b32_e64 v16, -v16, v16, s[36:37]
	;; [unrolled: 1-line block ×6, first 2 shown]
	ds_bpermute_b32 v10, v87, v8
	ds_bpermute_b32 v11, v87, v9
	s_waitcnt lgkmcnt(6)
	v_pk_add_f32 v[16:17], v[16:17], v[18:19]
	s_waitcnt lgkmcnt(2)
	v_pk_add_f32 v[54:55], v[54:55], v[76:77]
	v_pk_add_f32 v[52:53], v[52:53], v[74:75]
	ds_bpermute_b32 v18, v87, v16
	ds_bpermute_b32 v19, v87, v17
	;; [unrolled: 1-line block ×10, first 2 shown]
	v_cndmask_b32_e64 v9, -v9, v9, s[38:39]
	v_cndmask_b32_e64 v8, -v8, v8, s[38:39]
	s_waitcnt lgkmcnt(10)
	v_pk_add_f32 v[8:9], v[8:9], v[10:11]
	v_cndmask_b32_e64 v11, -v17, v17, s[38:39]
	v_cndmask_b32_e64 v10, -v16, v16, s[38:39]
	;; [unrolled: 1-line block ×10, first 2 shown]
	s_waitcnt lgkmcnt(8)
	v_pk_add_f32 v[10:11], v[10:11], v[18:19]
	s_waitcnt lgkmcnt(0)
	v_pk_add_f32 v[76:77], v[54:55], v[76:77]
	v_pk_add_f32 v[74:75], v[52:53], v[74:75]
	;; [unrolled: 1-line block ×4, first 2 shown]
	ds_write_b128 v69, v[94:97] offset:4096
	ds_write_b128 v69, v[58:61] offset:8192
	ds_write_b128 v69, v[32:35] offset:16384
	ds_write_b128 v69, v[8:11] offset:28672
	s_waitcnt lgkmcnt(0)
	s_barrier
	ds_read_b128 v[60:63], v100
	ds_read_b128 v[56:59], v100 offset:4096
	ds_read_b128 v[48:51], v100 offset:8192
	;; [unrolled: 1-line block ×7, first 2 shown]
	ds_bpermute_b32 v82, v65, v36
	ds_bpermute_b32 v83, v65, v37
	;; [unrolled: 1-line block ×4, first 2 shown]
	s_waitcnt lgkmcnt(0)
	s_barrier
	ds_write_b128 v100, v[74:77]
	ds_bpermute_b32 v74, v67, v44
	ds_bpermute_b32 v75, v67, v45
	ds_bpermute_b32 v76, v67, v46
	ds_bpermute_b32 v77, v67, v47
	v_cndmask_b32_e64 v45, -v45, v45, s[34:35]
	v_cndmask_b32_e64 v44, -v44, v44, s[34:35]
	v_cndmask_b32_e64 v47, -v47, v47, s[34:35]
	v_cndmask_b32_e64 v46, -v46, v46, s[34:35]
	v_cndmask_b32_e64 v37, -v37, v37, s[30:31]
	v_cndmask_b32_e64 v36, -v36, v36, s[30:31]
	v_cndmask_b32_e64 v39, -v39, v39, s[30:31]
	v_cndmask_b32_e64 v38, -v38, v38, s[30:31]
	s_waitcnt lgkmcnt(0)
	v_pk_add_f32 v[76:77], v[46:47], v[76:77]
	v_pk_add_f32 v[74:75], v[44:45], v[74:75]
	v_pk_add_f32 v[38:39], v[38:39], v[84:85]
	v_pk_add_f32 v[36:37], v[36:37], v[82:83]
	ds_bpermute_b32 v102, v65, v28
	ds_bpermute_b32 v103, v65, v29
	ds_bpermute_b32 v104, v65, v30
	ds_bpermute_b32 v105, v65, v31
	ds_write_b128 v100, v[74:77] offset:4096
	ds_bpermute_b32 v74, v67, v36
	ds_bpermute_b32 v75, v67, v37
	ds_bpermute_b32 v76, v67, v38
	ds_bpermute_b32 v77, v67, v39
	v_cndmask_b32_e64 v37, -v37, v37, s[34:35]
	v_cndmask_b32_e64 v36, -v36, v36, s[34:35]
	v_cndmask_b32_e64 v39, -v39, v39, s[34:35]
	v_cndmask_b32_e64 v38, -v38, v38, s[34:35]
	v_cndmask_b32_e64 v29, -v29, v29, s[30:31]
	v_cndmask_b32_e64 v28, -v28, v28, s[30:31]
	v_cndmask_b32_e64 v31, -v31, v31, s[30:31]
	v_cndmask_b32_e64 v30, -v30, v30, s[30:31]
	s_waitcnt lgkmcnt(0)
	v_pk_add_f32 v[38:39], v[38:39], v[76:77]
	v_pk_add_f32 v[36:37], v[36:37], v[74:75]
	v_pk_add_f32 v[30:31], v[30:31], v[104:105]
	v_pk_add_f32 v[28:29], v[28:29], v[102:103]
	ds_bpermute_b32 v70, v65, v20
	ds_bpermute_b32 v71, v65, v21
	ds_bpermute_b32 v72, v65, v22
	ds_bpermute_b32 v73, v65, v23
	ds_write_b128 v100, v[36:39] offset:8192
	;; [unrolled: 22-line block ×3, first 2 shown]
	ds_bpermute_b32 v28, v67, v20
	ds_bpermute_b32 v29, v67, v21
	;; [unrolled: 1-line block ×4, first 2 shown]
	v_cndmask_b32_e64 v21, -v21, v21, s[34:35]
	v_cndmask_b32_e64 v20, -v20, v20, s[34:35]
	;; [unrolled: 1-line block ×8, first 2 shown]
	s_waitcnt lgkmcnt(0)
	v_pk_add_f32 v[22:23], v[22:23], v[30:31]
	v_pk_add_f32 v[20:21], v[20:21], v[28:29]
	;; [unrolled: 1-line block ×4, first 2 shown]
	ds_write_b128 v100, v[20:23] offset:16384
	ds_bpermute_b32 v20, v67, v4
	ds_bpermute_b32 v21, v67, v5
	;; [unrolled: 1-line block ×8, first 2 shown]
	v_cndmask_b32_e64 v5, -v5, v5, s[34:35]
	v_cndmask_b32_e64 v4, -v4, v4, s[34:35]
	;; [unrolled: 1-line block ×4, first 2 shown]
	s_waitcnt lgkmcnt(4)
	v_pk_add_f32 v[6:7], v[6:7], v[22:23]
	v_pk_add_f32 v[4:5], v[4:5], v[20:21]
	ds_write_b128 v100, v[4:7] offset:20480
	v_cndmask_b32_e64 v5, -v13, v13, s[30:31]
	v_cndmask_b32_e64 v4, -v12, v12, s[30:31]
	;; [unrolled: 1-line block ×4, first 2 shown]
	ds_bpermute_b32 v52, v65, v0
	ds_bpermute_b32 v53, v65, v1
	s_waitcnt lgkmcnt(3)
	v_pk_add_f32 v[6:7], v[6:7], v[96:97]
	v_pk_add_f32 v[4:5], v[4:5], v[54:55]
	ds_bpermute_b32 v94, v65, v2
	ds_bpermute_b32 v95, v65, v3
	;; [unrolled: 1-line block ×10, first 2 shown]
	v_cndmask_b32_e64 v1, -v1, v1, s[30:31]
	v_cndmask_b32_e64 v0, -v0, v0, s[30:31]
	;; [unrolled: 1-line block ×8, first 2 shown]
	s_waitcnt lgkmcnt(10)
	v_pk_add_f32 v[0:1], v[0:1], v[52:53]
	v_cndmask_b32_e64 v53, -v61, v61, s[30:31]
	v_cndmask_b32_e64 v52, -v60, v60, s[30:31]
	;; [unrolled: 1-line block ×4, first 2 shown]
	s_waitcnt lgkmcnt(0)
	v_pk_add_f32 v[6:7], v[6:7], v[14:15]
	v_pk_add_f32 v[4:5], v[4:5], v[12:13]
	;; [unrolled: 1-line block ×5, first 2 shown]
	ds_write_b128 v100, v[4:7] offset:24576
	ds_bpermute_b32 v4, v67, v0
	ds_bpermute_b32 v5, v67, v1
	;; [unrolled: 1-line block ×12, first 2 shown]
	v_cndmask_b32_e64 v1, -v1, v1, s[34:35]
	v_cndmask_b32_e64 v0, -v0, v0, s[34:35]
	;; [unrolled: 1-line block ×8, first 2 shown]
	s_waitcnt lgkmcnt(8)
	v_pk_add_f32 v[2:3], v[2:3], v[6:7]
	v_pk_add_f32 v[0:1], v[0:1], v[4:5]
	s_waitcnt lgkmcnt(4)
	v_pk_add_f32 v[62:63], v[46:47], v[54:55]
	v_pk_add_f32 v[60:61], v[44:45], v[52:53]
	ds_write_b128 v100, v[0:3] offset:28672
	s_waitcnt lgkmcnt(0)
	s_barrier
	ds_read_b128 v[0:3], v69
	ds_read_b128 v[4:7], v69 offset:4096
	ds_read_b128 v[12:15], v69 offset:8192
	;; [unrolled: 1-line block ×7, first 2 shown]
	s_waitcnt lgkmcnt(0)
	s_barrier
	ds_write_b128 v100, v[60:63]
	v_cndmask_b32_e64 v61, -v57, v57, s[30:31]
	v_cndmask_b32_e64 v60, -v56, v56, s[30:31]
	;; [unrolled: 1-line block ×4, first 2 shown]
	v_pk_add_f32 v[58:59], v[58:59], v[92:93]
	v_pk_add_f32 v[60:61], v[60:61], v[90:91]
	ds_bpermute_b32 v86, v65, v48
	ds_bpermute_b32 v87, v65, v49
	;; [unrolled: 1-line block ×8, first 2 shown]
	v_cndmask_b32_e64 v93, -v61, v61, s[34:35]
	v_cndmask_b32_e64 v92, -v60, v60, s[34:35]
	v_cndmask_b32_e64 v59, -v59, v59, s[34:35]
	v_cndmask_b32_e64 v58, -v58, v58, s[34:35]
	v_cndmask_b32_e64 v49, -v49, v49, s[30:31]
	v_cndmask_b32_e64 v48, -v48, v48, s[30:31]
	v_cndmask_b32_e64 v51, -v51, v51, s[30:31]
	v_cndmask_b32_e64 v50, -v50, v50, s[30:31]
	s_waitcnt lgkmcnt(0)
	v_pk_add_f32 v[60:61], v[58:59], v[90:91]
	v_pk_add_f32 v[58:59], v[92:93], v[62:63]
	v_pk_add_f32 v[50:51], v[50:51], v[88:89]
	v_pk_add_f32 v[48:49], v[48:49], v[86:87]
	ds_bpermute_b32 v82, v65, v40
	ds_bpermute_b32 v83, v65, v41
	ds_bpermute_b32 v84, v65, v42
	ds_bpermute_b32 v85, v65, v43
	ds_write_b128 v100, v[58:61] offset:4096
	ds_bpermute_b32 v58, v67, v48
	ds_bpermute_b32 v59, v67, v49
	ds_bpermute_b32 v60, v67, v50
	ds_bpermute_b32 v61, v67, v51
	v_cndmask_b32_e64 v49, -v49, v49, s[34:35]
	v_cndmask_b32_e64 v48, -v48, v48, s[34:35]
	v_cndmask_b32_e64 v51, -v51, v51, s[34:35]
	v_cndmask_b32_e64 v50, -v50, v50, s[34:35]
	v_cndmask_b32_e64 v41, -v41, v41, s[30:31]
	v_cndmask_b32_e64 v40, -v40, v40, s[30:31]
	v_cndmask_b32_e64 v43, -v43, v43, s[30:31]
	v_cndmask_b32_e64 v42, -v42, v42, s[30:31]
	s_waitcnt lgkmcnt(0)
	v_pk_add_f32 v[50:51], v[50:51], v[60:61]
	v_pk_add_f32 v[48:49], v[48:49], v[58:59]
	v_pk_add_f32 v[42:43], v[42:43], v[84:85]
	v_pk_add_f32 v[40:41], v[40:41], v[82:83]
	ds_bpermute_b32 v78, v65, v32
	ds_bpermute_b32 v79, v65, v33
	ds_bpermute_b32 v80, v65, v34
	ds_bpermute_b32 v81, v65, v35
	ds_write_b128 v100, v[48:51] offset:8192
	ds_bpermute_b32 v48, v67, v40
	ds_bpermute_b32 v49, v67, v41
	ds_bpermute_b32 v50, v67, v42
	ds_bpermute_b32 v51, v67, v43
	;; [unrolled: 22-line block ×5, first 2 shown]
	v_cndmask_b32_e64 v17, -v17, v17, s[34:35]
	v_cndmask_b32_e64 v16, -v16, v16, s[34:35]
	;; [unrolled: 1-line block ×8, first 2 shown]
	s_waitcnt lgkmcnt(0)
	v_pk_add_f32 v[18:19], v[18:19], v[26:27]
	v_pk_add_f32 v[16:17], v[16:17], v[24:25]
	;; [unrolled: 1-line block ×4, first 2 shown]
	ds_write_b128 v100, v[16:19] offset:24576
	ds_bpermute_b32 v16, v67, v8
	ds_bpermute_b32 v17, v67, v9
	;; [unrolled: 1-line block ×4, first 2 shown]
	v_cndmask_b32_e64 v9, -v9, v9, s[34:35]
	v_cndmask_b32_e64 v8, -v8, v8, s[34:35]
	;; [unrolled: 1-line block ×4, first 2 shown]
	s_waitcnt lgkmcnt(0)
	v_pk_add_f32 v[10:11], v[10:11], v[18:19]
	v_pk_add_f32 v[8:9], v[8:9], v[16:17]
	ds_write_b128 v100, v[8:11] offset:28672
	s_waitcnt lgkmcnt(0)
	s_barrier
	ds_read_b128 v[8:11], v69
	ds_read_b128 v[16:19], v69 offset:4096
	ds_read_b128 v[24:27], v69 offset:8192
	;; [unrolled: 1-line block ×7, first 2 shown]
	s_mul_i32 s4, s46, s7
	s_mul_hi_u32 s5, s46, s6
	s_add_i32 s4, s5, s4
	s_mul_i32 s5, s47, s6
	s_add_i32 s5, s4, s5
	s_mul_i32 s4, s46, s6
	v_pk_add_f32 v[94:95], v[0:1], v[4:5]
	v_pk_add_f32 v[96:97], v[12:13], v[20:21]
	;; [unrolled: 1-line block ×4, first 2 shown]
	s_waitcnt lgkmcnt(6)
	v_pk_add_f32 v[102:103], v[8:9], v[16:17]
	s_waitcnt lgkmcnt(4)
	v_pk_add_f32 v[104:105], v[24:25], v[32:33]
	;; [unrolled: 2-line block ×4, first 2 shown]
	s_lshl_b64 s[4:5], s[4:5], 2
	v_pk_add_f32 v[110:111], v[2:3], v[6:7]
	v_pk_add_f32 v[112:113], v[14:15], v[22:23]
	;; [unrolled: 1-line block ×12, first 2 shown]
	s_add_u32 s4, s50, s4
	v_pk_add_f32 v[86:87], v[110:111], v[112:113]
	v_pk_add_f32 v[88:89], v[114:115], v[116:117]
	;; [unrolled: 1-line block ×6, first 2 shown]
	s_addc_u32 s5, s51, s5
	s_mov_b32 s49, s48
	v_pk_add_f32 v[74:75], v[86:87], v[88:89]
	v_pk_add_f32 v[76:77], v[90:91], v[92:93]
	s_and_saveexec_b64 s[6:7], s[12:13]
	s_cbranch_execz .LBB11_34
; %bb.33:
	v_pk_add_f32 v[128:129], v[72:73], v[70:71]
	v_pk_add_f32 v[130:131], v[76:77], v[74:75]
	v_pk_mul_f32 v[128:129], s[48:49], v[128:129]
	v_pk_mul_f32 v[130:131], s[48:49], v[130:131]
	global_store_dwordx4 v126, v[128:131], s[4:5]
.LBB11_34:
	s_or_b64 exec, exec, s[6:7]
	v_pk_add_f32 v[126:127], v[0:1], v[4:5] neg_lo:[0,1] neg_hi:[0,1]
	v_pk_add_f32 v[128:129], v[12:13], v[20:21] neg_lo:[0,1] neg_hi:[0,1]
	v_pk_add_f32 v[28:29], v[28:29], v[36:37] neg_lo:[0,1] neg_hi:[0,1]
	v_pk_add_f32 v[44:45], v[44:45], v[52:53] neg_lo:[0,1] neg_hi:[0,1]
	v_pk_add_f32 v[52:53], v[2:3], v[6:7] neg_lo:[0,1] neg_hi:[0,1]
	v_pk_add_f32 v[130:131], v[14:15], v[22:23] neg_lo:[0,1] neg_hi:[0,1]
	v_pk_add_f32 v[30:31], v[30:31], v[38:39] neg_lo:[0,1] neg_hi:[0,1]
	v_pk_add_f32 v[38:39], v[46:47], v[54:55] neg_lo:[0,1] neg_hi:[0,1]
	v_pk_add_f32 v[46:47], v[8:9], v[16:17] neg_lo:[0,1] neg_hi:[0,1]
	v_pk_add_f32 v[54:55], v[10:11], v[18:19] neg_lo:[0,1] neg_hi:[0,1]
	v_pk_add_f32 v[24:25], v[24:25], v[32:33] neg_lo:[0,1] neg_hi:[0,1]
	v_pk_add_f32 v[26:27], v[26:27], v[34:35] neg_lo:[0,1] neg_hi:[0,1]
	v_pk_add_f32 v[48:49], v[40:41], v[48:49] neg_lo:[0,1] neg_hi:[0,1]
	v_pk_add_f32 v[42:43], v[42:43], v[50:51] neg_lo:[0,1] neg_hi:[0,1]
	v_pk_add_f32 v[50:51], v[56:57], v[60:61] neg_lo:[0,1] neg_hi:[0,1]
	v_pk_add_f32 v[132:133], v[58:59], v[62:63] neg_lo:[0,1] neg_hi:[0,1]
	v_pk_add_f32 v[16:17], v[126:127], v[128:129]
	v_pk_add_f32 v[18:19], v[28:29], v[44:45]
	;; [unrolled: 1-line block ×12, first 2 shown]
	s_and_saveexec_b64 s[6:7], s[42:43]
	s_cbranch_execz .LBB11_36
; %bb.35:
	v_pk_add_f32 v[8:9], v[2:3], v[0:1]
	v_pk_add_f32 v[10:11], v[6:7], v[4:5]
	v_pk_mul_f32 v[8:9], s[48:49], v[8:9]
	v_pk_mul_f32 v[10:11], s[48:49], v[10:11]
	global_store_dwordx4 v137, v[8:11], s[4:5]
.LBB11_36:
	s_or_b64 exec, exec, s[6:7]
	v_pk_add_f32 v[56:57], v[94:95], v[96:97] neg_lo:[0,1] neg_hi:[0,1]
	v_pk_add_f32 v[58:59], v[98:99], v[100:101] neg_lo:[0,1] neg_hi:[0,1]
	;; [unrolled: 1-line block ×8, first 2 shown]
	v_pk_add_f32 v[8:9], v[56:57], v[58:59]
	v_pk_add_f32 v[10:11], v[60:61], v[62:63]
	;; [unrolled: 1-line block ×4, first 2 shown]
	s_and_saveexec_b64 s[6:7], s[0:1]
	s_cbranch_execz .LBB11_38
; %bb.37:
	v_pk_add_f32 v[102:103], v[10:11], v[8:9]
	v_pk_add_f32 v[104:105], v[14:15], v[12:13]
	v_pk_mul_f32 v[102:103], s[48:49], v[102:103]
	v_pk_mul_f32 v[104:105], s[48:49], v[104:105]
	global_store_dwordx4 v135, v[102:105], s[4:5]
.LBB11_38:
	s_or_b64 exec, exec, s[6:7]
	v_pk_add_f32 v[102:103], v[126:127], v[128:129] neg_lo:[0,1] neg_hi:[0,1]
	v_pk_add_f32 v[104:105], v[28:29], v[44:45] neg_lo:[0,1] neg_hi:[0,1]
	;; [unrolled: 1-line block ×8, first 2 shown]
	v_pk_add_f32 v[24:25], v[102:103], v[104:105]
	v_pk_add_f32 v[26:27], v[110:111], v[114:115]
	;; [unrolled: 1-line block ×4, first 2 shown]
	s_and_saveexec_b64 s[0:1], vcc
	s_cbranch_execz .LBB11_40
; %bb.39:
	v_pk_add_f32 v[38:39], v[26:27], v[24:25]
	v_pk_add_f32 v[44:45], v[30:31], v[28:29]
	v_pk_mul_f32 v[42:43], s[48:49], v[38:39]
	v_pk_mul_f32 v[44:45], s[48:49], v[44:45]
	global_store_dwordx4 v134, v[42:45], s[4:5]
.LBB11_40:
	s_or_b64 exec, exec, s[0:1]
	v_pk_add_f32 v[38:39], v[78:79], v[80:81] neg_lo:[0,1] neg_hi:[0,1]
	v_pk_add_f32 v[42:43], v[82:83], v[84:85] neg_lo:[0,1] neg_hi:[0,1]
	v_pk_add_f32 v[44:45], v[86:87], v[88:89] neg_lo:[0,1] neg_hi:[0,1]
	v_pk_add_f32 v[46:47], v[90:91], v[92:93] neg_lo:[0,1] neg_hi:[0,1]
	s_and_saveexec_b64 s[0:1], s[2:3]
	s_cbranch_execz .LBB11_42
; %bb.41:
	v_pk_add_f32 v[48:49], v[38:39], v[42:43]
	v_pk_add_f32 v[50:51], v[44:45], v[46:47]
	v_pk_mul_f32 v[48:49], s[48:49], v[48:49]
	v_pk_mul_f32 v[50:51], s[48:49], v[50:51]
	global_store_dwordx4 v136, v[48:51], s[4:5]
.LBB11_42:
	s_or_b64 exec, exec, s[0:1]
	v_pk_add_f32 v[48:49], v[16:17], v[18:19] neg_lo:[0,1] neg_hi:[0,1]
	v_pk_add_f32 v[50:51], v[20:21], v[22:23] neg_lo:[0,1] neg_hi:[0,1]
	v_pk_add_f32 v[52:53], v[32:33], v[34:35] neg_lo:[0,1] neg_hi:[0,1]
	v_pk_add_f32 v[54:55], v[36:37], v[40:41] neg_lo:[0,1] neg_hi:[0,1]
	s_and_saveexec_b64 s[0:1], s[44:45]
	;; [unrolled: 14-line block ×4, first 2 shown]
	s_cbranch_execnz .LBB11_56
; %bb.47:
	s_or_b64 exec, exec, s[0:1]
	s_and_saveexec_b64 s[0:1], s[14:15]
	s_cbranch_execnz .LBB11_57
.LBB11_48:
	s_or_b64 exec, exec, s[0:1]
	s_and_saveexec_b64 s[0:1], s[16:17]
	s_cbranch_execnz .LBB11_58
.LBB11_49:
	s_or_b64 exec, exec, s[0:1]
	s_and_saveexec_b64 s[0:1], s[18:19]
	s_cbranch_execnz .LBB11_59
.LBB11_50:
	s_or_b64 exec, exec, s[0:1]
	s_and_saveexec_b64 s[0:1], s[20:21]
	s_cbranch_execnz .LBB11_60
.LBB11_51:
	s_or_b64 exec, exec, s[0:1]
	s_and_saveexec_b64 s[0:1], s[22:23]
	s_cbranch_execnz .LBB11_61
.LBB11_52:
	s_or_b64 exec, exec, s[0:1]
	s_and_saveexec_b64 s[0:1], s[24:25]
	s_cbranch_execnz .LBB11_62
.LBB11_53:
	s_or_b64 exec, exec, s[0:1]
	s_and_saveexec_b64 s[0:1], s[26:27]
	s_cbranch_execnz .LBB11_63
.LBB11_54:
	s_or_b64 exec, exec, s[0:1]
	s_and_saveexec_b64 s[0:1], s[28:29]
	s_cbranch_execnz .LBB11_64
.LBB11_55:
	s_endpgm
.LBB11_56:
	v_pk_add_f32 v[56:57], v[16:17], v[20:21]
	v_pk_add_f32 v[58:59], v[18:19], v[22:23]
	v_pk_mul_f32 v[56:57], s[48:49], v[56:57]
	v_pk_mul_f32 v[58:59], s[48:49], v[58:59]
	global_store_dwordx4 v140, v[56:59], s[4:5]
	s_or_b64 exec, exec, s[0:1]
	s_and_saveexec_b64 s[0:1], s[14:15]
	s_cbranch_execz .LBB11_48
.LBB11_57:
	v_pk_add_f32 v[56:57], v[70:71], v[72:73] neg_lo:[0,1] neg_hi:[0,1]
	v_pk_add_f32 v[58:59], v[74:75], v[76:77] neg_lo:[0,1] neg_hi:[0,1]
	v_pk_mul_f32 v[56:57], s[48:49], v[56:57]
	v_pk_mul_f32 v[58:59], s[48:49], v[58:59]
	global_store_dwordx4 v141, v[56:59], s[4:5]
	s_or_b64 exec, exec, s[0:1]
	s_and_saveexec_b64 s[0:1], s[16:17]
	s_cbranch_execz .LBB11_49
.LBB11_58:
	v_pk_add_f32 v[0:1], v[0:1], v[2:3] neg_lo:[0,1] neg_hi:[0,1]
	v_pk_add_f32 v[2:3], v[4:5], v[6:7] neg_lo:[0,1] neg_hi:[0,1]
	v_pk_mul_f32 v[0:1], s[48:49], v[0:1]
	v_pk_mul_f32 v[2:3], s[48:49], v[2:3]
	global_store_dwordx4 v142, v[0:3], s[4:5]
	s_or_b64 exec, exec, s[0:1]
	s_and_saveexec_b64 s[0:1], s[18:19]
	s_cbranch_execz .LBB11_50
.LBB11_59:
	v_pk_add_f32 v[0:1], v[8:9], v[10:11] neg_lo:[0,1] neg_hi:[0,1]
	v_pk_add_f32 v[2:3], v[12:13], v[14:15] neg_lo:[0,1] neg_hi:[0,1]
	v_pk_mul_f32 v[0:1], s[48:49], v[0:1]
	v_pk_mul_f32 v[2:3], s[48:49], v[2:3]
	global_store_dwordx4 v143, v[0:3], s[4:5]
	s_or_b64 exec, exec, s[0:1]
	s_and_saveexec_b64 s[0:1], s[20:21]
	s_cbranch_execz .LBB11_51
.LBB11_60:
	v_pk_add_f32 v[0:1], v[24:25], v[26:27] neg_lo:[0,1] neg_hi:[0,1]
	v_pk_add_f32 v[2:3], v[28:29], v[30:31] neg_lo:[0,1] neg_hi:[0,1]
	v_pk_mul_f32 v[0:1], s[48:49], v[0:1]
	v_pk_mul_f32 v[2:3], s[48:49], v[2:3]
	global_store_dwordx4 v144, v[0:3], s[4:5]
	s_or_b64 exec, exec, s[0:1]
	s_and_saveexec_b64 s[0:1], s[22:23]
	s_cbranch_execz .LBB11_52
.LBB11_61:
	v_pk_add_f32 v[0:1], v[38:39], v[42:43] neg_lo:[0,1] neg_hi:[0,1]
	v_pk_add_f32 v[2:3], v[44:45], v[46:47] neg_lo:[0,1] neg_hi:[0,1]
	v_pk_mul_f32 v[0:1], s[48:49], v[0:1]
	v_pk_mul_f32 v[2:3], s[48:49], v[2:3]
	global_store_dwordx4 v145, v[0:3], s[4:5]
	s_or_b64 exec, exec, s[0:1]
	s_and_saveexec_b64 s[0:1], s[24:25]
	s_cbranch_execz .LBB11_53
.LBB11_62:
	v_mov_b32_e32 v65, 0
	v_lshlrev_b64 v[4:5], 4, v[64:65]
	v_pk_add_f32 v[0:1], v[48:49], v[50:51] neg_lo:[0,1] neg_hi:[0,1]
	v_pk_add_f32 v[2:3], v[52:53], v[54:55] neg_lo:[0,1] neg_hi:[0,1]
	v_mov_b32_e32 v6, s5
	v_add_co_u32_e32 v4, vcc, s4, v4
	v_pk_mul_f32 v[0:1], s[48:49], v[0:1]
	v_pk_mul_f32 v[2:3], s[48:49], v[2:3]
	v_addc_co_u32_e32 v5, vcc, v6, v5, vcc
	global_store_dwordx4 v[4:5], v[0:3], off
	s_or_b64 exec, exec, s[0:1]
	s_and_saveexec_b64 s[0:1], s[26:27]
	s_cbranch_execz .LBB11_54
.LBB11_63:
	v_mov_b32_e32 v67, 0
	v_lshlrev_b64 v[4:5], 4, v[66:67]
	v_pk_add_f32 v[0:1], v[32:33], v[34:35] neg_lo:[0,1] neg_hi:[0,1]
	v_pk_add_f32 v[2:3], v[36:37], v[40:41] neg_lo:[0,1] neg_hi:[0,1]
	v_mov_b32_e32 v6, s5
	v_add_co_u32_e32 v4, vcc, s4, v4
	v_pk_mul_f32 v[0:1], s[48:49], v[0:1]
	v_pk_mul_f32 v[2:3], s[48:49], v[2:3]
	v_addc_co_u32_e32 v5, vcc, v6, v5, vcc
	global_store_dwordx4 v[4:5], v[0:3], off
	s_or_b64 exec, exec, s[0:1]
	s_and_saveexec_b64 s[0:1], s[28:29]
	s_cbranch_execz .LBB11_55
.LBB11_64:
	v_mov_b32_e32 v69, 0
	v_lshlrev_b64 v[4:5], 4, v[68:69]
	v_pk_add_f32 v[0:1], v[16:17], v[20:21] neg_lo:[0,1] neg_hi:[0,1]
	v_pk_add_f32 v[2:3], v[18:19], v[22:23] neg_lo:[0,1] neg_hi:[0,1]
	v_mov_b32_e32 v6, s5
	v_add_co_u32_e32 v4, vcc, s4, v4
	v_pk_mul_f32 v[0:1], s[48:49], v[0:1]
	v_pk_mul_f32 v[2:3], s[48:49], v[2:3]
	v_addc_co_u32_e32 v5, vcc, v6, v5, vcc
	global_store_dwordx4 v[4:5], v[0:3], off
	s_endpgm
	.section	.rodata,"a",@progbits
	.p2align	6, 0x0
	.amdhsa_kernel _Z30fast_hadamard_transform_kernelI37fast_hadamard_transform_kernel_traitsILi256ELi14EfEEv18HadamardParamsBase
		.amdhsa_group_segment_fixed_size 0
		.amdhsa_private_segment_fixed_size 0
		.amdhsa_kernarg_size 312
		.amdhsa_user_sgpr_count 6
		.amdhsa_user_sgpr_private_segment_buffer 1
		.amdhsa_user_sgpr_dispatch_ptr 0
		.amdhsa_user_sgpr_queue_ptr 0
		.amdhsa_user_sgpr_kernarg_segment_ptr 1
		.amdhsa_user_sgpr_dispatch_id 0
		.amdhsa_user_sgpr_flat_scratch_init 0
		.amdhsa_user_sgpr_kernarg_preload_length 0
		.amdhsa_user_sgpr_kernarg_preload_offset 0
		.amdhsa_user_sgpr_private_segment_size 0
		.amdhsa_uses_dynamic_stack 0
		.amdhsa_system_sgpr_private_segment_wavefront_offset 0
		.amdhsa_system_sgpr_workgroup_id_x 1
		.amdhsa_system_sgpr_workgroup_id_y 0
		.amdhsa_system_sgpr_workgroup_id_z 0
		.amdhsa_system_sgpr_workgroup_info 0
		.amdhsa_system_vgpr_workitem_id 0
		.amdhsa_next_free_vgpr 158
		.amdhsa_next_free_sgpr 52
		.amdhsa_accum_offset 160
		.amdhsa_reserve_vcc 1
		.amdhsa_reserve_flat_scratch 0
		.amdhsa_float_round_mode_32 0
		.amdhsa_float_round_mode_16_64 0
		.amdhsa_float_denorm_mode_32 3
		.amdhsa_float_denorm_mode_16_64 3
		.amdhsa_dx10_clamp 1
		.amdhsa_ieee_mode 1
		.amdhsa_fp16_overflow 0
		.amdhsa_tg_split 0
		.amdhsa_exception_fp_ieee_invalid_op 0
		.amdhsa_exception_fp_denorm_src 0
		.amdhsa_exception_fp_ieee_div_zero 0
		.amdhsa_exception_fp_ieee_overflow 0
		.amdhsa_exception_fp_ieee_underflow 0
		.amdhsa_exception_fp_ieee_inexact 0
		.amdhsa_exception_int_div_zero 0
	.end_amdhsa_kernel
	.section	.text._Z30fast_hadamard_transform_kernelI37fast_hadamard_transform_kernel_traitsILi256ELi14EfEEv18HadamardParamsBase,"axG",@progbits,_Z30fast_hadamard_transform_kernelI37fast_hadamard_transform_kernel_traitsILi256ELi14EfEEv18HadamardParamsBase,comdat
.Lfunc_end11:
	.size	_Z30fast_hadamard_transform_kernelI37fast_hadamard_transform_kernel_traitsILi256ELi14EfEEv18HadamardParamsBase, .Lfunc_end11-_Z30fast_hadamard_transform_kernelI37fast_hadamard_transform_kernel_traitsILi256ELi14EfEEv18HadamardParamsBase
                                        ; -- End function
	.section	.AMDGPU.csdata,"",@progbits
; Kernel info:
; codeLenInByte = 16300
; NumSgprs: 56
; NumVgprs: 158
; NumAgprs: 0
; TotalNumVgprs: 158
; ScratchSize: 0
; MemoryBound: 0
; FloatMode: 240
; IeeeMode: 1
; LDSByteSize: 0 bytes/workgroup (compile time only)
; SGPRBlocks: 6
; VGPRBlocks: 19
; NumSGPRsForWavesPerEU: 56
; NumVGPRsForWavesPerEU: 158
; AccumOffset: 160
; Occupancy: 3
; WaveLimiterHint : 0
; COMPUTE_PGM_RSRC2:SCRATCH_EN: 0
; COMPUTE_PGM_RSRC2:USER_SGPR: 6
; COMPUTE_PGM_RSRC2:TRAP_HANDLER: 0
; COMPUTE_PGM_RSRC2:TGID_X_EN: 1
; COMPUTE_PGM_RSRC2:TGID_Y_EN: 0
; COMPUTE_PGM_RSRC2:TGID_Z_EN: 0
; COMPUTE_PGM_RSRC2:TIDIG_COMP_CNT: 0
; COMPUTE_PGM_RSRC3_GFX90A:ACCUM_OFFSET: 39
; COMPUTE_PGM_RSRC3_GFX90A:TG_SPLIT: 0
	.section	.text._Z30fast_hadamard_transform_kernelI37fast_hadamard_transform_kernel_traitsILi256ELi15EfEEv18HadamardParamsBase,"axG",@progbits,_Z30fast_hadamard_transform_kernelI37fast_hadamard_transform_kernel_traitsILi256ELi15EfEEv18HadamardParamsBase,comdat
	.protected	_Z30fast_hadamard_transform_kernelI37fast_hadamard_transform_kernel_traitsILi256ELi15EfEEv18HadamardParamsBase ; -- Begin function _Z30fast_hadamard_transform_kernelI37fast_hadamard_transform_kernel_traitsILi256ELi15EfEEv18HadamardParamsBase
	.globl	_Z30fast_hadamard_transform_kernelI37fast_hadamard_transform_kernel_traitsILi256ELi15EfEEv18HadamardParamsBase
	.p2align	8
	.type	_Z30fast_hadamard_transform_kernelI37fast_hadamard_transform_kernel_traitsILi256ELi15EfEEv18HadamardParamsBase,@function
_Z30fast_hadamard_transform_kernelI37fast_hadamard_transform_kernel_traitsILi256ELi15EfEEv18HadamardParamsBase: ; @_Z30fast_hadamard_transform_kernelI37fast_hadamard_transform_kernel_traitsILi256ELi15EfEEv18HadamardParamsBase
; %bb.0:
	s_load_dwordx4 s[72:75], s[4:5], 0x10
	s_load_dword s33, s[4:5], 0x4
	s_ashr_i32 s7, s6, 31
	s_load_dwordx4 s[76:79], s[4:5], 0x28
	s_load_dword s2, s[4:5], 0x44
	s_waitcnt lgkmcnt(0)
	s_mul_hi_u32 s0, s72, s6
	s_mul_i32 s1, s72, s7
	s_add_i32 s0, s0, s1
	s_mul_i32 s1, s73, s6
	s_add_i32 s1, s0, s1
	s_mul_i32 s0, s72, s6
	s_lshl_b64 s[0:1], s[0:1], 2
	v_lshlrev_b32_e32 v1, 2, v0
	s_add_u32 s64, s76, s0
	v_cmp_gt_u32_e64 s[48:49], s33, v1
	v_lshlrev_b32_e32 v1, 4, v0
	s_addc_u32 s65, s77, s1
	v_mov_b32_e32 v2, 0
	v_accvgpr_write_b32 a15, v1
	v_mov_b32_e32 v6, 0
	v_mov_b32_e32 v7, 0
	;; [unrolled: 1-line block ×4, first 2 shown]
	s_and_saveexec_b64 s[0:1], s[48:49]
	s_cbranch_execz .LBB12_2
; %bb.1:
	v_accvgpr_read_b32 v1, a15
	global_load_dwordx4 v[6:9], v1, s[64:65]
.LBB12_2:
	s_or_b64 exec, exec, s[0:1]
	s_and_b32 s66, 0xffff, s2
	v_add_u32_e32 v1, s66, v0
	v_accvgpr_write_b32 a17, v0
	v_lshlrev_b32_e32 v0, 2, v1
	v_cmp_gt_u32_e64 s[30:31], s33, v0
	v_lshlrev_b32_e32 v0, 4, v1
	v_accvgpr_write_b32 a13, v0
	v_mov_b32_e32 v3, 0
	v_mov_b32_e32 v4, 0
	v_mov_b32_e32 v5, 0
	s_and_saveexec_b64 s[0:1], s[30:31]
	s_cbranch_execz .LBB12_4
; %bb.3:
	v_accvgpr_read_b32 v0, a13
	global_load_dwordx4 v[2:5], v0, s[64:65]
.LBB12_4:
	s_or_b64 exec, exec, s[0:1]
	v_add_u32_e32 v1, s66, v1
	v_lshlrev_b32_e32 v0, 2, v1
	v_cmp_gt_u32_e64 s[22:23], s33, v0
	v_lshlrev_b32_e32 v0, 4, v1
	v_mov_b32_e32 v10, 0
	v_accvgpr_write_b32 a11, v0
	v_mov_b32_e32 v14, 0
	v_mov_b32_e32 v15, 0
	v_mov_b32_e32 v16, 0
	v_mov_b32_e32 v17, 0
	s_and_saveexec_b64 s[0:1], s[22:23]
	s_cbranch_execz .LBB12_6
; %bb.5:
	v_accvgpr_read_b32 v0, a11
	global_load_dwordx4 v[14:17], v0, s[64:65]
.LBB12_6:
	s_or_b64 exec, exec, s[0:1]
	v_add_u32_e32 v1, s66, v1
	v_lshlrev_b32_e32 v0, 2, v1
	v_cmp_gt_u32_e64 s[12:13], s33, v0
	v_lshlrev_b32_e32 v0, 4, v1
	v_accvgpr_write_b32 a7, v0
	v_mov_b32_e32 v11, 0
	v_mov_b32_e32 v12, 0
	v_mov_b32_e32 v13, 0
	s_and_saveexec_b64 s[0:1], s[12:13]
	s_cbranch_execz .LBB12_8
; %bb.7:
	v_accvgpr_read_b32 v0, a7
	global_load_dwordx4 v[10:13], v0, s[64:65]
.LBB12_8:
	s_or_b64 exec, exec, s[0:1]
	v_add_u32_e32 v1, s66, v1
	v_lshlrev_b32_e32 v0, 2, v1
	v_cmp_gt_u32_e64 s[8:9], s33, v0
	v_lshlrev_b32_e32 v0, 4, v1
	v_mov_b32_e32 v18, 0
	v_accvgpr_write_b32 a5, v0
	v_mov_b32_e32 v22, 0
	v_mov_b32_e32 v23, 0
	v_mov_b32_e32 v24, 0
	v_mov_b32_e32 v25, 0
	s_and_saveexec_b64 s[0:1], s[8:9]
	s_cbranch_execz .LBB12_10
; %bb.9:
	v_accvgpr_read_b32 v0, a5
	global_load_dwordx4 v[22:25], v0, s[64:65]
.LBB12_10:
	s_or_b64 exec, exec, s[0:1]
	v_add_u32_e32 v1, s66, v1
	;; [unrolled: 32-line block ×3, first 2 shown]
	v_lshlrev_b32_e32 v0, 2, v1
	v_cmp_gt_u32_e32 vcc, s33, v0
	v_lshlrev_b32_e32 v0, 4, v1
	v_accvgpr_write_b32 a0, v0
	v_mov_b32_e32 v27, 0
	v_mov_b32_e32 v28, 0
	;; [unrolled: 1-line block ×3, first 2 shown]
	s_and_saveexec_b64 s[2:3], vcc
	s_cbranch_execz .LBB12_16
; %bb.15:
	v_accvgpr_read_b32 v0, a0
	global_load_dwordx4 v[26:29], v0, s[64:65]
.LBB12_16:
	s_or_b64 exec, exec, s[2:3]
	v_add_u32_e32 v1, s66, v1
	v_lshlrev_b32_e32 v0, 2, v1
	v_cmp_gt_u32_e64 s[2:3], s33, v0
	v_lshlrev_b32_e32 v0, 4, v1
	v_mov_b32_e32 v34, 0
	v_accvgpr_write_b32 a2, v0
	v_mov_b32_e32 v38, 0
	v_mov_b32_e32 v39, 0
	;; [unrolled: 1-line block ×4, first 2 shown]
	s_and_saveexec_b64 s[10:11], s[2:3]
	s_cbranch_execz .LBB12_18
; %bb.17:
	v_accvgpr_read_b32 v0, a2
	global_load_dwordx4 v[38:41], v0, s[64:65]
.LBB12_18:
	s_or_b64 exec, exec, s[10:11]
	v_add_u32_e32 v1, s66, v1
	v_lshlrev_b32_e32 v0, 2, v1
	v_cmp_gt_u32_e64 s[70:71], s33, v0
	v_lshlrev_b32_e32 v0, 4, v1
	v_accvgpr_write_b32 a4, v0
	v_mov_b32_e32 v35, 0
	v_mov_b32_e32 v36, 0
	;; [unrolled: 1-line block ×3, first 2 shown]
	s_and_saveexec_b64 s[10:11], s[70:71]
	s_cbranch_execz .LBB12_20
; %bb.19:
	v_accvgpr_read_b32 v0, a4
	global_load_dwordx4 v[34:37], v0, s[64:65]
.LBB12_20:
	s_or_b64 exec, exec, s[10:11]
	v_add_u32_e32 v1, s66, v1
	v_lshlrev_b32_e32 v0, 2, v1
	v_cmp_gt_u32_e64 s[10:11], s33, v0
	v_lshlrev_b32_e32 v0, 4, v1
	v_mov_b32_e32 v42, 0
	v_accvgpr_write_b32 a6, v0
	v_mov_b32_e32 v46, 0
	v_mov_b32_e32 v47, 0
	;; [unrolled: 1-line block ×4, first 2 shown]
	s_and_saveexec_b64 s[14:15], s[10:11]
	s_cbranch_execz .LBB12_22
; %bb.21:
	v_accvgpr_read_b32 v0, a6
	global_load_dwordx4 v[46:49], v0, s[64:65]
.LBB12_22:
	s_or_b64 exec, exec, s[14:15]
	v_add_u32_e32 v1, s66, v1
	v_lshlrev_b32_e32 v0, 2, v1
	v_cmp_gt_u32_e64 s[14:15], s33, v0
	v_lshlrev_b32_e32 v0, 4, v1
	v_accvgpr_write_b32 a8, v0
	v_mov_b32_e32 v43, 0
	v_mov_b32_e32 v44, 0
	;; [unrolled: 1-line block ×3, first 2 shown]
	s_and_saveexec_b64 s[16:17], s[14:15]
	s_cbranch_execz .LBB12_24
; %bb.23:
	v_accvgpr_read_b32 v0, a8
	global_load_dwordx4 v[42:45], v0, s[64:65]
.LBB12_24:
	s_or_b64 exec, exec, s[16:17]
	v_add_u32_e32 v1, s66, v1
	v_lshlrev_b32_e32 v0, 2, v1
	v_cmp_gt_u32_e64 s[16:17], s33, v0
	v_lshlrev_b32_e32 v0, 4, v1
	v_mov_b32_e32 v54, 0
	v_accvgpr_write_b32 a9, v0
	v_mov_b32_e32 v50, 0
	v_mov_b32_e32 v51, 0
	;; [unrolled: 1-line block ×4, first 2 shown]
	s_and_saveexec_b64 s[18:19], s[16:17]
	s_cbranch_execz .LBB12_26
; %bb.25:
	v_accvgpr_read_b32 v0, a9
	global_load_dwordx4 v[50:53], v0, s[64:65]
.LBB12_26:
	s_or_b64 exec, exec, s[18:19]
	v_add_u32_e32 v58, s66, v1
	v_lshlrev_b32_e32 v0, 2, v58
	v_cmp_gt_u32_e64 s[18:19], s33, v0
	v_mov_b32_e32 v55, 0
	v_mov_b32_e32 v56, 0
	v_mov_b32_e32 v57, 0
	s_and_saveexec_b64 s[24:25], s[18:19]
	s_cbranch_execz .LBB12_28
; %bb.27:
	v_mov_b32_e32 v59, 0
	v_lshlrev_b64 v[54:55], 4, v[58:59]
	v_mov_b32_e32 v0, s65
	v_add_co_u32_e64 v54, s[20:21], s64, v54
	v_addc_co_u32_e64 v55, s[20:21], v0, v55, s[20:21]
	global_load_dwordx4 v[54:57], v[54:55], off
.LBB12_28:
	s_or_b64 exec, exec, s[24:25]
	v_add_u32_e32 v60, s66, v58
	v_lshlrev_b32_e32 v0, 2, v60
	v_accvgpr_write_b32 a10, v58
	v_cmp_gt_u32_e64 s[20:21], s33, v0
	v_mov_b32_e32 v58, 0
	v_mov_b32_e32 v62, 0
	v_mov_b32_e32 v63, 0
	v_mov_b32_e32 v64, 0
	v_mov_b32_e32 v65, 0
	s_and_saveexec_b64 s[26:27], s[20:21]
	s_cbranch_execz .LBB12_30
; %bb.29:
	v_mov_b32_e32 v61, 0
	v_pk_mov_b32 v[66:67], v[60:61], v[60:61] op_sel:[0,1]
	v_lshlrev_b64 v[60:61], 4, v[66:67]
	v_mov_b32_e32 v0, s65
	v_add_co_u32_e64 v60, s[24:25], s64, v60
	v_addc_co_u32_e64 v61, s[24:25], v0, v61, s[24:25]
	global_load_dwordx4 v[62:65], v[60:61], off
	v_mov_b32_e32 v60, v66
.LBB12_30:
	s_or_b64 exec, exec, s[26:27]
	v_add_u32_e32 v66, s66, v60
	v_lshlrev_b32_e32 v0, 2, v66
	v_accvgpr_write_b32 a12, v60
	v_cmp_gt_u32_e64 s[24:25], s33, v0
	v_mov_b32_e32 v59, 0
	v_mov_b32_e32 v60, 0
	v_mov_b32_e32 v61, 0
	s_and_saveexec_b64 s[28:29], s[24:25]
	s_cbranch_execz .LBB12_32
; %bb.31:
	v_mov_b32_e32 v67, 0
	v_lshlrev_b64 v[58:59], 4, v[66:67]
	v_mov_b32_e32 v0, s65
	v_add_co_u32_e64 v58, s[26:27], s64, v58
	v_addc_co_u32_e64 v59, s[26:27], v0, v59, s[26:27]
	global_load_dwordx4 v[58:61], v[58:59], off
.LBB12_32:
	s_or_b64 exec, exec, s[28:29]
	v_add_u32_e32 v68, s66, v66
	v_lshlrev_b32_e32 v0, 2, v68
	v_accvgpr_write_b32 a14, v66
	v_cmp_gt_u32_e64 s[26:27], s33, v0
	v_mov_b32_e32 v66, 0
	v_mov_b32_e32 v70, 0
	v_mov_b32_e32 v71, 0
	v_mov_b32_e32 v72, 0
	v_mov_b32_e32 v73, 0
	s_and_saveexec_b64 s[34:35], s[26:27]
	s_cbranch_execz .LBB12_34
; %bb.33:
	v_mov_b32_e32 v69, 0
	v_pk_mov_b32 v[74:75], v[68:69], v[68:69] op_sel:[0,1]
	v_lshlrev_b64 v[68:69], 4, v[74:75]
	v_mov_b32_e32 v0, s65
	v_add_co_u32_e64 v68, s[28:29], s64, v68
	v_addc_co_u32_e64 v69, s[28:29], v0, v69, s[28:29]
	global_load_dwordx4 v[70:73], v[68:69], off
	v_mov_b32_e32 v68, v74
.LBB12_34:
	s_or_b64 exec, exec, s[34:35]
	v_add_u32_e32 v74, s66, v68
	v_lshlrev_b32_e32 v0, 2, v74
	v_accvgpr_write_b32 a16, v68
	;; [unrolled: 40-line block ×4, first 2 shown]
	v_cmp_gt_u32_e64 s[40:41], s33, v0
	v_mov_b32_e32 v83, 0
	v_mov_b32_e32 v84, 0
	v_mov_b32_e32 v85, 0
	s_and_saveexec_b64 s[44:45], s[40:41]
	s_cbranch_execz .LBB12_44
; %bb.43:
	v_mov_b32_e32 v91, 0
	v_lshlrev_b64 v[82:83], 4, v[90:91]
	v_mov_b32_e32 v0, s65
	v_add_co_u32_e64 v82, s[42:43], s64, v82
	v_addc_co_u32_e64 v83, s[42:43], v0, v83, s[42:43]
	global_load_dwordx4 v[82:85], v[82:83], off
.LBB12_44:
	s_or_b64 exec, exec, s[44:45]
	v_add_u32_e32 v98, s66, v90
	v_lshlrev_b32_e32 v0, 2, v98
	v_accvgpr_write_b32 a26, v90
	v_cmp_gt_u32_e64 s[42:43], s33, v0
	v_mov_b32_e32 v90, 0
	v_mov_b32_e32 v94, 0
	v_mov_b32_e32 v95, 0
	v_mov_b32_e32 v96, 0
	v_mov_b32_e32 v97, 0
	s_and_saveexec_b64 s[46:47], s[42:43]
	s_cbranch_execz .LBB12_46
; %bb.45:
	v_mov_b32_e32 v99, 0
	v_lshlrev_b64 v[92:93], 4, v[98:99]
	v_mov_b32_e32 v0, s65
	v_add_co_u32_e64 v92, s[44:45], s64, v92
	v_addc_co_u32_e64 v93, s[44:45], v0, v93, s[44:45]
	global_load_dwordx4 v[94:97], v[92:93], off
.LBB12_46:
	s_or_b64 exec, exec, s[46:47]
	v_accvgpr_write_b32 a28, v98
	v_add_u32_e32 v98, s66, v98
	v_lshlrev_b32_e32 v0, 2, v98
	v_cmp_gt_u32_e64 s[44:45], s33, v0
	v_mov_b32_e32 v91, 0
	v_mov_b32_e32 v92, 0
	v_mov_b32_e32 v93, 0
	s_and_saveexec_b64 s[50:51], s[44:45]
	s_cbranch_execz .LBB12_48
; %bb.47:
	v_mov_b32_e32 v99, 0
	v_lshlrev_b64 v[90:91], 4, v[98:99]
	v_mov_b32_e32 v0, s65
	v_add_co_u32_e64 v90, s[46:47], s64, v90
	v_addc_co_u32_e64 v91, s[46:47], v0, v91, s[46:47]
	global_load_dwordx4 v[90:93], v[90:91], off
.LBB12_48:
	s_or_b64 exec, exec, s[50:51]
	v_add_u32_e32 v106, s66, v98
	v_lshlrev_b32_e32 v0, 2, v106
	v_accvgpr_write_b32 a30, v98
	v_cmp_gt_u32_e64 s[46:47], s33, v0
	v_mov_b32_e32 v98, 0
	v_mov_b32_e32 v102, 0
	v_mov_b32_e32 v103, 0
	v_mov_b32_e32 v104, 0
	v_mov_b32_e32 v105, 0
	s_and_saveexec_b64 s[52:53], s[46:47]
	s_cbranch_execz .LBB12_50
; %bb.49:
	v_mov_b32_e32 v107, 0
	v_lshlrev_b64 v[100:101], 4, v[106:107]
	v_mov_b32_e32 v0, s65
	v_add_co_u32_e64 v100, s[50:51], s64, v100
	v_addc_co_u32_e64 v101, s[50:51], v0, v101, s[50:51]
	global_load_dwordx4 v[102:105], v[100:101], off
.LBB12_50:
	s_or_b64 exec, exec, s[52:53]
	v_accvgpr_write_b32 a32, v106
	v_add_u32_e32 v106, s66, v106
	v_lshlrev_b32_e32 v0, 2, v106
	;; [unrolled: 38-line block ×4, first 2 shown]
	v_cmp_gt_u32_e64 s[58:59], s33, v0
	v_mov_b32_e32 v115, 0
	v_mov_b32_e32 v116, 0
	;; [unrolled: 1-line block ×3, first 2 shown]
	s_and_saveexec_b64 s[62:63], s[58:59]
	s_cbranch_execz .LBB12_60
; %bb.59:
	v_mov_b32_e32 v123, 0
	v_lshlrev_b64 v[114:115], 4, v[122:123]
	v_mov_b32_e32 v0, s65
	v_add_co_u32_e64 v114, s[60:61], s64, v114
	v_addc_co_u32_e64 v115, s[60:61], v0, v115, s[60:61]
	global_load_dwordx4 v[114:117], v[114:115], off
.LBB12_60:
	s_or_b64 exec, exec, s[62:63]
	s_load_dwordx2 s[72:73], s[4:5], 0x20
	v_add_u32_e32 v130, s66, v122
	v_lshlrev_b32_e32 v0, 2, v130
	v_accvgpr_write_b32 a42, v122
	v_cmp_gt_u32_e64 s[60:61], s33, v0
	v_mov_b32_e32 v122, 0
	v_mov_b32_e32 v126, 0
	;; [unrolled: 1-line block ×5, first 2 shown]
	s_and_saveexec_b64 s[62:63], s[60:61]
	s_cbranch_execz .LBB12_62
; %bb.61:
	v_mov_b32_e32 v131, 0
	v_lshlrev_b64 v[124:125], 4, v[130:131]
	v_mov_b32_e32 v0, s65
	v_add_co_u32_e64 v124, s[4:5], s64, v124
	v_addc_co_u32_e64 v125, s[4:5], v0, v125, s[4:5]
	global_load_dwordx4 v[126:129], v[124:125], off
.LBB12_62:
	s_or_b64 exec, exec, s[62:63]
	v_add_u32_e32 v0, s66, v130
	v_accvgpr_write_b32 a46, v0
	v_lshlrev_b32_e32 v0, 2, v0
	v_accvgpr_write_b32 a44, v130
	v_cmp_gt_u32_e64 s[62:63], s33, v0
	v_mov_b32_e32 v123, 0
	v_mov_b32_e32 v124, 0
	;; [unrolled: 1-line block ×3, first 2 shown]
	s_and_saveexec_b64 s[66:67], s[62:63]
	s_cbranch_execz .LBB12_64
; %bb.63:
	v_accvgpr_read_b32 v0, a46
	v_mov_b32_e32 v1, 0
	v_lshlrev_b64 v[122:123], 4, v[0:1]
	v_mov_b32_e32 v0, s65
	v_add_co_u32_e64 v122, s[4:5], s64, v122
	v_addc_co_u32_e64 v123, s[4:5], v0, v123, s[4:5]
	global_load_dwordx4 v[122:125], v[122:123], off
.LBB12_64:
	s_or_b64 exec, exec, s[66:67]
	s_waitcnt vmcnt(0)
	v_mov_b32_e32 v130, v7
	v_pk_add_f32 v[0:1], v[6:7], v[130:131] op_sel_hi:[1,0]
	v_accvgpr_write_b32 a49, v1
	v_accvgpr_write_b32 a48, v0
	v_pk_add_f32 v[0:1], v[6:7], v[130:131] op_sel_hi:[1,0] neg_lo:[0,1] neg_hi:[0,1]
	v_accvgpr_write_b32 a83, v1
	v_mov_b32_e32 v134, v3
	v_accvgpr_write_b32 a82, v0
	v_pk_add_f32 v[0:1], v[2:3], v[134:135] op_sel_hi:[1,0]
	v_accvgpr_write_b32 a51, v1
	v_accvgpr_write_b32 a50, v0
	v_pk_add_f32 v[0:1], v[2:3], v[134:135] op_sel_hi:[1,0] neg_lo:[0,1] neg_hi:[0,1]
	v_accvgpr_write_b32 a85, v1
	v_mov_b32_e32 v136, v15
	v_accvgpr_write_b32 a84, v0
	;; [unrolled: 7-line block ×6, first 2 shown]
	v_pk_add_f32 v[0:1], v[30:31], v[140:141] op_sel_hi:[1,0]
	v_accvgpr_write_b32 a61, v1
	v_accvgpr_write_b32 a60, v0
	v_pk_add_f32 v[0:1], v[30:31], v[140:141] op_sel_hi:[1,0] neg_lo:[0,1] neg_hi:[0,1]
	v_mov_b32_e32 v30, v27
	v_pk_add_f32 v[218:219], v[26:27], v[30:31] op_sel_hi:[1,0]
	v_pk_add_f32 v[198:199], v[26:27], v[30:31] op_sel_hi:[1,0] neg_lo:[0,1] neg_hi:[0,1]
	v_mov_b32_e32 v26, v29
	v_pk_add_f32 v[190:191], v[28:29], v[26:27] op_sel_hi:[1,0]
	;; [unrolled: 3-line block ×28, first 2 shown]
	v_pk_add_f32 v[254:255], v[88:89], v[26:27] op_sel_hi:[1,0] neg_lo:[0,1] neg_hi:[0,1]
	v_mov_b32_e32 v26, v83
	v_accvgpr_write_b32 a95, v1
	v_mov_b32_e32 v140, v9
	v_pk_add_f32 v[228:229], v[82:83], v[26:27] op_sel_hi:[1,0]
	v_pk_add_f32 v[82:83], v[82:83], v[26:27] op_sel_hi:[1,0] neg_lo:[0,1] neg_hi:[0,1]
	v_mov_b32_e32 v26, v85
	v_accvgpr_write_b32 a94, v0
	v_pk_add_f32 v[144:145], v[8:9], v[140:141] op_sel_hi:[1,0]
	v_pk_add_f32 v[0:1], v[8:9], v[140:141] op_sel_hi:[1,0] neg_lo:[0,1] neg_hi:[0,1]
	v_mov_b32_e32 v8, v5
	v_pk_add_f32 v[232:233], v[84:85], v[26:27] op_sel_hi:[1,0]
	v_pk_add_f32 v[188:189], v[84:85], v[26:27] op_sel_hi:[1,0] neg_lo:[0,1] neg_hi:[0,1]
	v_mov_b32_e32 v26, v95
	v_mov_b32_e32 v84, v91
	;; [unrolled: 1-line block ×3, first 2 shown]
	v_pk_add_f32 v[140:141], v[4:5], v[8:9] op_sel_hi:[1,0]
	v_pk_add_f32 v[238:239], v[4:5], v[8:9] op_sel_hi:[1,0] neg_lo:[0,1] neg_hi:[0,1]
	v_mov_b32_e32 v4, v17
	v_pk_add_f32 v[236:237], v[94:95], v[26:27] op_sel_hi:[1,0]
	v_pk_add_f32 v[184:185], v[94:95], v[26:27] op_sel_hi:[1,0] neg_lo:[0,1] neg_hi:[0,1]
	v_mov_b32_e32 v26, v97
	v_pk_add_f32 v[240:241], v[90:91], v[84:85] op_sel_hi:[1,0]
	v_pk_add_f32 v[84:85], v[90:91], v[84:85] op_sel_hi:[1,0] neg_lo:[0,1] neg_hi:[0,1]
	v_pk_add_f32 v[90:91], v[92:93], v[88:89] op_sel_hi:[1,0]
	v_pk_add_f32 v[88:89], v[92:93], v[88:89] op_sel_hi:[1,0] neg_lo:[0,1] neg_hi:[0,1]
	v_mov_b32_e32 v92, v103
	v_pk_add_f32 v[214:215], v[16:17], v[4:5] op_sel_hi:[1,0]
	v_pk_add_f32 v[234:235], v[16:17], v[4:5] op_sel_hi:[1,0] neg_lo:[0,1] neg_hi:[0,1]
	v_mov_b32_e32 v4, v13
	v_pk_add_f32 v[94:95], v[96:97], v[26:27] op_sel_hi:[1,0]
	v_pk_add_f32 v[54:55], v[96:97], v[26:27] op_sel_hi:[1,0] neg_lo:[0,1] neg_hi:[0,1]
	;; [unrolled: 8-line block ×3, first 2 shown]
	v_mov_b32_e32 v104, v99
	v_pk_add_f32 v[222:223], v[24:25], v[4:5] op_sel_hi:[1,0]
	v_pk_add_f32 v[206:207], v[24:25], v[4:5] op_sel_hi:[1,0] neg_lo:[0,1] neg_hi:[0,1]
	v_pk_add_f32 v[24:25], v[98:99], v[104:105] op_sel_hi:[1,0]
	v_pk_add_f32 v[98:99], v[98:99], v[104:105] op_sel_hi:[1,0] neg_lo:[0,1] neg_hi:[0,1]
	v_mov_b32_e32 v104, v101
	v_mov_b32_e32 v4, v21
	v_pk_add_f32 v[160:161], v[100:101], v[104:105] op_sel_hi:[1,0]
	v_pk_add_f32 v[100:101], v[100:101], v[104:105] op_sel_hi:[1,0] neg_lo:[0,1] neg_hi:[0,1]
	v_mov_b32_e32 v104, v111
	v_pk_add_f32 v[148:149], v[20:21], v[4:5] op_sel_hi:[1,0]
	v_pk_add_f32 v[202:203], v[20:21], v[4:5] op_sel_hi:[1,0] neg_lo:[0,1] neg_hi:[0,1]
	v_pk_add_f32 v[20:21], v[110:111], v[104:105] op_sel_hi:[1,0]
	v_pk_add_f32 v[110:111], v[110:111], v[104:105] op_sel_hi:[1,0] neg_lo:[0,1] neg_hi:[0,1]
	v_mov_b32_e32 v104, v113
	v_pk_add_f32 v[18:19], v[112:113], v[104:105] op_sel_hi:[1,0]
	v_pk_add_f32 v[38:39], v[112:113], v[104:105] op_sel_hi:[1,0] neg_lo:[0,1] neg_hi:[0,1]
	v_mov_b32_e32 v104, v107
	v_accvgpr_read_b32 v40, a48
	v_accvgpr_read_b32 v48, a50
	v_pk_add_f32 v[22:23], v[106:107], v[104:105] op_sel_hi:[1,0]
	v_pk_add_f32 v[106:107], v[106:107], v[104:105] op_sel_hi:[1,0] neg_lo:[0,1] neg_hi:[0,1]
	v_mov_b32_e32 v104, v109
	v_accvgpr_read_b32 v41, a49
	v_accvgpr_read_b32 v49, a51
	v_pk_add_f32 v[16:17], v[108:109], v[104:105] op_sel_hi:[1,0]
	v_pk_add_f32 v[36:37], v[108:109], v[104:105] op_sel_hi:[1,0] neg_lo:[0,1] neg_hi:[0,1]
	v_mov_b32_e32 v104, v119
	v_pk_add_f32 v[34:35], v[144:145], v[40:41]
	v_pk_add_f32 v[40:41], v[40:41], v[144:145] neg_lo:[0,1] neg_hi:[0,1]
	v_pk_add_f32 v[44:45], v[140:141], v[48:49]
	v_pk_add_f32 v[48:49], v[48:49], v[140:141] neg_lo:[0,1] neg_hi:[0,1]
	;; [unrolled: 2-line block ×3, first 2 shown]
	v_pk_add_f32 v[192:193], v[224:225], v[76:77]
	v_mov_b32_e32 v4, v33
	v_pk_add_f32 v[14:15], v[118:119], v[104:105] op_sel_hi:[1,0]
	v_pk_add_f32 v[118:119], v[118:119], v[104:105] op_sel_hi:[1,0] neg_lo:[0,1] neg_hi:[0,1]
	v_mov_b32_e32 v104, v121
	v_accvgpr_write_b32 a80, v192
	v_pk_add_f32 v[192:193], v[232:233], v[228:229]
	v_pk_add_f32 v[230:231], v[32:33], v[4:5] op_sel_hi:[1,0]
	v_pk_add_f32 v[194:195], v[32:33], v[4:5] op_sel_hi:[1,0] neg_lo:[0,1] neg_hi:[0,1]
	v_pk_add_f32 v[12:13], v[120:121], v[104:105] op_sel_hi:[1,0]
	v_pk_add_f32 v[32:33], v[120:121], v[104:105] op_sel_hi:[1,0] neg_lo:[0,1] neg_hi:[0,1]
	v_mov_b32_e32 v104, v115
	v_accvgpr_write_b32 a78, v192
	v_pk_add_f32 v[192:193], v[228:229], v[232:233] neg_lo:[0,1] neg_hi:[0,1]
	v_pk_add_f32 v[10:11], v[114:115], v[104:105] op_sel_hi:[1,0]
	v_pk_add_f32 v[114:115], v[114:115], v[104:105] op_sel_hi:[1,0] neg_lo:[0,1] neg_hi:[0,1]
	v_mov_b32_e32 v104, v117
	v_accvgpr_write_b32 a76, v192
	v_pk_add_f32 v[192:193], v[94:95], v[236:237]
	v_pk_add_f32 v[94:95], v[236:237], v[94:95] neg_lo:[0,1] neg_hi:[0,1]
	v_pk_add_f32 v[8:9], v[116:117], v[104:105] op_sel_hi:[1,0]
	v_pk_add_f32 v[30:31], v[116:117], v[104:105] op_sel_hi:[1,0] neg_lo:[0,1] neg_hi:[0,1]
	v_mov_b32_e32 v104, v127
	v_accvgpr_write_b32 a72, v94
	v_pk_add_f32 v[94:95], v[90:91], v[240:241]
	;; [unrolled: 6-line block ×3, first 2 shown]
	v_pk_add_f32 v[4:5], v[128:129], v[104:105] op_sel_hi:[1,0]
	v_pk_add_f32 v[28:29], v[128:129], v[104:105] op_sel_hi:[1,0] neg_lo:[0,1] neg_hi:[0,1]
	v_mov_b32_e32 v104, v123
	v_accvgpr_write_b32 a66, v90
	v_pk_add_f32 v[90:91], v[96:97], v[132:133] neg_lo:[0,1] neg_hi:[0,1]
	v_accvgpr_write_b32 a97, v1
	v_pk_add_f32 v[2:3], v[122:123], v[104:105] op_sel_hi:[1,0]
	v_pk_add_f32 v[122:123], v[122:123], v[104:105] op_sel_hi:[1,0] neg_lo:[0,1] neg_hi:[0,1]
	v_mov_b32_e32 v104, v125
	v_accvgpr_read_b32 v109, a57
	v_accvgpr_write_b32 a64, v90
	v_pk_add_f32 v[90:91], v[160:161], v[24:25]
	v_pk_add_f32 v[24:25], v[24:25], v[160:161] neg_lo:[0,1] neg_hi:[0,1]
	v_pk_add_f32 v[160:161], v[18:19], v[20:21]
	v_pk_add_f32 v[20:21], v[20:21], v[18:19] neg_lo:[0,1] neg_hi:[0,1]
	;; [unrolled: 2-line block ×5, first 2 shown]
	v_accvgpr_write_b32 a96, v0
	v_pk_add_f32 v[0:1], v[124:125], v[104:105] op_sel_hi:[1,0]
	v_accvgpr_read_b32 v59, a53
	v_accvgpr_read_b32 v108, a56
	v_accvgpr_write_b32 a56, v8
	v_pk_add_f32 v[8:9], v[4:5], v[6:7]
	v_pk_add_f32 v[4:5], v[6:7], v[4:5] neg_lo:[0,1] neg_hi:[0,1]
	v_accvgpr_read_b32 v58, a52
	v_accvgpr_write_b32 a52, v4
	v_pk_add_f32 v[4:5], v[0:1], v[2:3]
	v_pk_add_f32 v[0:1], v[2:3], v[0:1] neg_lo:[0,1] neg_hi:[0,1]
	v_accvgpr_write_b32 a50, v4
	v_accvgpr_write_b32 a48, v0
	v_accvgpr_read_b32 v0, a82
	v_accvgpr_read_b32 v4, a96
	v_pk_add_f32 v[26:27], v[124:125], v[104:105] op_sel_hi:[1,0] neg_lo:[0,1] neg_hi:[0,1]
	v_accvgpr_read_b32 v65, a55
	v_accvgpr_read_b32 v125, a61
	v_accvgpr_read_b32 v1, a83
	v_accvgpr_read_b32 v5, a97
	v_accvgpr_read_b32 v64, a54
	v_accvgpr_read_b32 v124, a60
	v_pk_add_f32 v[2:3], v[0:1], v[4:5]
	v_pk_add_f32 v[10:11], v[0:1], v[4:5] neg_lo:[0,1] neg_hi:[0,1]
	v_accvgpr_read_b32 v0, a84
	v_accvgpr_read_b32 v4, a86
	v_pk_add_f32 v[52:53], v[214:215], v[58:59]
	v_pk_add_f32 v[58:59], v[58:59], v[214:215] neg_lo:[0,1] neg_hi:[0,1]
	v_pk_add_f32 v[60:61], v[226:227], v[64:65]
	v_pk_add_f32 v[64:65], v[64:65], v[226:227] neg_lo:[0,1] neg_hi:[0,1]
	;; [unrolled: 2-line block ×10, first 2 shown]
	v_accvgpr_read_b32 v1, a85
	v_accvgpr_read_b32 v5, a87
	v_pk_add_f32 v[212:213], v[178:179], v[152:153]
	v_pk_add_f32 v[208:209], v[178:179], v[152:153] neg_lo:[0,1] neg_hi:[0,1]
	v_pk_add_f32 v[178:179], v[106:107], v[36:37] neg_lo:[0,1] neg_hi:[0,1]
	v_accvgpr_write_b32 a62, v90
	v_pk_add_f32 v[90:91], v[0:1], v[238:239]
	v_pk_add_f32 v[238:239], v[0:1], v[238:239] neg_lo:[0,1] neg_hi:[0,1]
	v_pk_add_f32 v[0:1], v[4:5], v[234:235]
	v_accvgpr_read_b32 v179, a17
	v_and_b32_e32 v1, 1, v179
	v_cmp_eq_u32_e64 s[64:65], 0, v1
	v_mbcnt_lo_u32_b32 v1, -1, 0
	v_mbcnt_hi_u32_b32 v1, -1, v1
	v_pk_add_f32 v[46:47], v[42:43], v[176:177]
	v_pk_add_f32 v[42:43], v[176:177], v[42:43] neg_lo:[0,1] neg_hi:[0,1]
	v_pk_add_f32 v[176:177], v[216:217], v[68:69]
	v_and_b32_e32 v3, 64, v1
	v_add_u32_e32 v177, 64, v3
	v_xor_b32_e32 v3, 1, v1
	v_pk_add_f32 v[234:235], v[4:5], v[234:235] neg_lo:[0,1] neg_hi:[0,1]
	v_accvgpr_read_b32 v4, a88
	v_cmp_lt_i32_e64 s[4:5], v3, v177
	v_accvgpr_read_b32 v5, a89
	v_cndmask_b32_e64 v3, v1, v3, s[4:5]
	v_accvgpr_write_b32 a70, v94
	v_pk_add_f32 v[94:95], v[4:5], v[210:211]
	v_pk_add_f32 v[210:211], v[4:5], v[210:211] neg_lo:[0,1] neg_hi:[0,1]
	v_accvgpr_read_b32 v4, a90
	v_lshlrev_b32_e32 v152, 2, v3
	v_accvgpr_read_b32 v5, a91
	ds_bpermute_b32 v3, v152, v34
	v_pk_add_f32 v[132:133], v[4:5], v[206:207]
	v_pk_add_f32 v[206:207], v[4:5], v[206:207] neg_lo:[0,1] neg_hi:[0,1]
	v_accvgpr_read_b32 v4, a92
	v_accvgpr_read_b32 v6, a94
	;; [unrolled: 1-line block ×4, first 2 shown]
	v_pk_add_f32 v[96:97], v[4:5], v[202:203]
	v_pk_add_f32 v[202:203], v[4:5], v[202:203] neg_lo:[0,1] neg_hi:[0,1]
	v_pk_add_f32 v[4:5], v[6:7], v[194:195]
	v_cndmask_b32_e64 v5, -v34, v34, s[64:65]
	s_waitcnt lgkmcnt(0)
	v_add_f32_e32 v35, v5, v3
	ds_bpermute_b32 v3, v152, v2
	v_cndmask_b32_e64 v2, -v2, v2, s[64:65]
	v_accvgpr_read_b32 v117, a59
	v_accvgpr_read_b32 v116, a58
	v_pk_add_f32 v[112:113], v[148:149], v[116:117]
	s_waitcnt lgkmcnt(0)
	v_add_f32_e32 v41, v2, v3
	ds_bpermute_b32 v2, v152, v40
	v_pk_add_f32 v[116:117], v[116:117], v[148:149] neg_lo:[0,1] neg_hi:[0,1]
	v_pk_add_f32 v[190:191], v[50:51], v[180:181]
	v_pk_add_f32 v[148:149], v[180:181], v[50:51] neg_lo:[0,1] neg_hi:[0,1]
	v_pk_add_f32 v[50:51], v[62:63], v[56:57]
	;; [unrolled: 2-line block ×5, first 2 shown]
	v_pk_add_f32 v[36:37], v[114:115], v[30:31]
	v_cndmask_b32_e64 v3, -v40, v40, s[64:65]
	s_waitcnt lgkmcnt(0)
	v_add_f32_e32 v37, v3, v2
	ds_bpermute_b32 v2, v152, v10
	v_cndmask_b32_e64 v3, -v10, v10, s[64:65]
	v_pk_add_f32 v[186:187], v[68:69], v[216:217] neg_lo:[0,1] neg_hi:[0,1]
	v_pk_add_f32 v[68:69], v[220:221], v[80:81]
	v_pk_add_f32 v[80:81], v[80:81], v[220:221] neg_lo:[0,1] neg_hi:[0,1]
	v_accvgpr_write_b32 a74, v192
	v_accvgpr_write_b32 a54, v8
	v_pk_add_f32 v[194:195], v[6:7], v[194:195] neg_lo:[0,1] neg_hi:[0,1]
	v_pk_add_f32 v[6:7], v[198:199], v[162:163]
	v_pk_add_f32 v[240:241], v[198:199], v[162:163] neg_lo:[0,1] neg_hi:[0,1]
	v_pk_add_f32 v[220:221], v[174:175], v[154:155]
	;; [unrolled: 2-line block ×8, first 2 shown]
	v_pk_add_f32 v[250:251], v[118:119], v[32:33] neg_lo:[0,1] neg_hi:[0,1]
	v_pk_add_f32 v[32:33], v[114:115], v[30:31] neg_lo:[0,1] neg_hi:[0,1]
	s_waitcnt lgkmcnt(0)
	v_add_f32_e32 v31, v3, v2
	ds_bpermute_b32 v2, v152, v44
	v_cndmask_b32_e64 v3, -v44, v44, s[64:65]
	v_pk_add_f32 v[76:77], v[76:77], v[224:225] neg_lo:[0,1] neg_hi:[0,1]
	v_pk_add_f32 v[236:237], v[166:167], v[158:159]
	v_pk_add_f32 v[232:233], v[166:167], v[158:159] neg_lo:[0,1] neg_hi:[0,1]
	s_waitcnt lgkmcnt(0)
	v_add_f32_e32 v7, v3, v2
	ds_bpermute_b32 v2, v152, v90
	v_cndmask_b32_e64 v3, -v90, v90, s[64:65]
	v_pk_add_f32 v[228:229], v[170:171], v[156:157]
	v_pk_add_f32 v[224:225], v[170:171], v[156:157] neg_lo:[0,1] neg_hi:[0,1]
	v_pk_add_f32 v[170:171], v[126:127], v[28:29]
	v_pk_add_f32 v[166:167], v[126:127], v[28:29] neg_lo:[0,1] neg_hi:[0,1]
	s_waitcnt lgkmcnt(0)
	v_add_f32_e32 v29, v3, v2
	ds_bpermute_b32 v2, v152, v48
	v_cndmask_b32_e64 v3, -v48, v48, s[64:65]
	ds_bpermute_b32 v9, v152, v58
	v_cndmask_b32_e64 v10, -v234, v234, s[64:65]
	v_accvgpr_write_b32 a58, v14
	s_waitcnt lgkmcnt(1)
	v_add_f32_e32 v25, v3, v2
	ds_bpermute_b32 v2, v152, v238
	v_cndmask_b32_e64 v3, -v238, v238, s[64:65]
	v_pk_add_f32 v[14:15], v[70:71], v[246:247] neg_lo:[0,1] neg_hi:[0,1]
	v_accvgpr_write_b32 a60, v16
	v_pk_add_f32 v[16:17], v[70:71], v[246:247]
	s_waitcnt lgkmcnt(0)
	v_add_f32_e32 v23, v3, v2
	ds_bpermute_b32 v2, v152, v52
	v_cndmask_b32_e64 v3, -v52, v52, s[64:65]
	v_pk_add_f32 v[244:245], v[86:87], v[254:255]
	v_pk_add_f32 v[154:155], v[86:87], v[254:255] neg_lo:[0,1] neg_hi:[0,1]
	v_pk_add_f32 v[198:199], v[122:123], v[26:27]
	s_waitcnt lgkmcnt(0)
	v_add_f32_e32 v5, v3, v2
	ds_bpermute_b32 v2, v152, v0
	v_cndmask_b32_e64 v0, -v0, v0, s[64:65]
	v_pk_add_f32 v[254:255], v[122:123], v[26:27] neg_lo:[0,1] neg_hi:[0,1]
	v_pk_add_f32 v[242:243], v[82:83], v[188:189]
	v_pk_add_f32 v[246:247], v[82:83], v[188:189] neg_lo:[0,1] neg_hi:[0,1]
	s_waitcnt lgkmcnt(0)
	v_add_f32_e32 v3, v0, v2
	ds_bpermute_b32 v2, v152, v234
	v_cndmask_b32_e64 v0, -v58, v58, s[64:65]
	v_add_f32_e32 v0, v0, v9
	ds_bpermute_b32 v9, v152, v60
	v_pk_add_f32 v[86:87], v[184:185], v[54:55]
	s_waitcnt lgkmcnt(1)
	v_add_f32_e32 v11, v10, v2
	ds_bpermute_b32 v2, v152, v94
	v_cndmask_b32_e64 v10, -v60, v60, s[64:65]
	s_waitcnt lgkmcnt(1)
	v_add_f32_e32 v13, v10, v9
	ds_bpermute_b32 v9, v152, v64
	v_cndmask_b32_e64 v10, -v94, v94, s[64:65]
	;; [unrolled: 4-line block ×8, first 2 shown]
	v_pk_add_f32 v[82:83], v[184:185], v[54:55] neg_lo:[0,1] neg_hi:[0,1]
	v_pk_add_f32 v[184:185], v[110:111], v[38:39]
	v_pk_add_f32 v[54:55], v[110:111], v[38:39] neg_lo:[0,1] neg_hi:[0,1]
	s_waitcnt lgkmcnt(1)
	v_add_f32_e32 v39, v10, v2
	ds_bpermute_b32 v2, v152, v96
	v_cndmask_b32_e64 v10, -v112, v112, s[64:65]
	s_waitcnt lgkmcnt(1)
	v_add_f32_e32 v45, v10, v9
	ds_bpermute_b32 v9, v152, v116
	v_cndmask_b32_e64 v10, -v96, v96, s[64:65]
	;; [unrolled: 4-line block ×11, first 2 shown]
	v_pk_add_f32 v[66:67], v[92:93], v[102:103] neg_lo:[0,1] neg_hi:[0,1]
	s_waitcnt lgkmcnt(1)
	v_add_f32_e32 v65, v6, v4
	ds_bpermute_b32 v4, v152, v222
	v_cndmask_b32_e64 v6, -v240, v240, s[64:65]
	s_waitcnt lgkmcnt(1)
	v_add_f32_e32 v67, v6, v2
	ds_bpermute_b32 v2, v152, v236
	v_cndmask_b32_e64 v6, -v222, v222, s[64:65]
	v_pk_add_f32 v[70:71], v[92:93], v[102:103]
	s_waitcnt lgkmcnt(1)
	v_add_f32_e32 v69, v6, v4
	ds_bpermute_b32 v4, v152, v218
	v_cndmask_b32_e64 v6, -v236, v236, s[64:65]
	s_waitcnt lgkmcnt(1)
	v_add_f32_e32 v71, v6, v2
	ds_bpermute_b32 v2, v152, v232
	v_cndmask_b32_e64 v6, -v218, v218, s[64:65]
	v_pk_add_f32 v[156:157], v[74:75], v[252:253]
	v_pk_add_f32 v[158:159], v[74:75], v[252:253] neg_lo:[0,1] neg_hi:[0,1]
	v_pk_add_f32 v[74:75], v[84:85], v[88:89] neg_lo:[0,1] neg_hi:[0,1]
	s_waitcnt lgkmcnt(1)
	v_add_f32_e32 v73, v6, v4
	ds_bpermute_b32 v4, v152, v214
	v_cndmask_b32_e64 v6, -v232, v232, s[64:65]
	s_waitcnt lgkmcnt(1)
	v_add_f32_e32 v75, v6, v2
	ds_bpermute_b32 v2, v152, v228
	v_cndmask_b32_e64 v6, -v214, v214, s[64:65]
	v_pk_add_f32 v[78:79], v[84:85], v[88:89]
	s_waitcnt lgkmcnt(1)
	v_add_f32_e32 v77, v6, v4
	ds_bpermute_b32 v4, v152, v128
	v_cndmask_b32_e64 v6, -v228, v228, s[64:65]
	s_waitcnt lgkmcnt(1)
	v_add_f32_e32 v79, v6, v2
	ds_bpermute_b32 v2, v152, v224
	v_cndmask_b32_e64 v6, -v128, v128, s[64:65]
	s_waitcnt lgkmcnt(1)
	v_add_f32_e32 v81, v6, v4
	ds_bpermute_b32 v4, v152, v130
	v_cndmask_b32_e64 v6, -v224, v224, s[64:65]
	s_waitcnt lgkmcnt(1)
	v_add_f32_e32 v83, v6, v2
	ds_bpermute_b32 v2, v152, v220
	v_cndmask_b32_e64 v6, -v130, v130, s[64:65]
	s_waitcnt lgkmcnt(1)
	v_add_f32_e32 v85, v6, v4
	ds_bpermute_b32 v4, v152, v134
	v_cndmask_b32_e64 v6, -v220, v220, s[64:65]
	s_waitcnt lgkmcnt(1)
	v_add_f32_e32 v87, v6, v2
	ds_bpermute_b32 v2, v152, v216
	v_cndmask_b32_e64 v6, -v134, v134, s[64:65]
	s_waitcnt lgkmcnt(1)
	v_add_f32_e32 v89, v6, v4
	ds_bpermute_b32 v4, v152, v46
	v_cndmask_b32_e64 v6, -v216, v216, s[64:65]
	s_waitcnt lgkmcnt(1)
	v_add_f32_e32 v91, v6, v2
	ds_bpermute_b32 v2, v152, v212
	v_cndmask_b32_e64 v6, -v46, v46, s[64:65]
	s_waitcnt lgkmcnt(1)
	v_add_f32_e32 v93, v6, v4
	ds_bpermute_b32 v4, v152, v42
	v_cndmask_b32_e64 v6, -v212, v212, s[64:65]
	s_waitcnt lgkmcnt(1)
	v_add_f32_e32 v95, v6, v2
	ds_bpermute_b32 v2, v152, v208
	v_cndmask_b32_e64 v6, -v42, v42, s[64:65]
	s_waitcnt lgkmcnt(1)
	v_add_f32_e32 v97, v6, v4
	ds_bpermute_b32 v4, v152, v190
	v_cndmask_b32_e64 v6, -v208, v208, s[64:65]
	v_pk_add_f32 v[252:253], v[98:99], v[100:101]
	v_pk_add_f32 v[188:189], v[98:99], v[100:101] neg_lo:[0,1] neg_hi:[0,1]
	s_waitcnt lgkmcnt(1)
	v_add_f32_e32 v99, v6, v2
	ds_bpermute_b32 v2, v152, v204
	v_cndmask_b32_e64 v6, -v190, v190, s[64:65]
	s_waitcnt lgkmcnt(1)
	v_add_f32_e32 v101, v6, v4
	ds_bpermute_b32 v4, v152, v148
	v_cndmask_b32_e64 v6, -v204, v204, s[64:65]
	;; [unrolled: 4-line block ×31, first 2 shown]
	v_accvgpr_read_b32 v8, a80
	s_waitcnt lgkmcnt(1)
	v_add_f32_e32 v92, v6, v4
	ds_bpermute_b32 v4, v152, v8
	v_cndmask_b32_e64 v6, -v158, v158, s[64:65]
	s_waitcnt lgkmcnt(1)
	v_add_f32_e32 v106, v6, v2
	ds_bpermute_b32 v2, v152, v244
	v_cndmask_b32_e64 v6, -v8, v8, s[64:65]
	;; [unrolled: 4-line block ×4, first 2 shown]
	v_accvgpr_read_b32 v8, a78
	s_waitcnt lgkmcnt(1)
	v_add_f32_e32 v84, v6, v4
	ds_bpermute_b32 v4, v152, v8
	v_cndmask_b32_e64 v6, -v154, v154, s[64:65]
	s_waitcnt lgkmcnt(1)
	v_add_f32_e32 v98, v6, v2
	ds_bpermute_b32 v2, v152, v242
	v_cndmask_b32_e64 v6, -v8, v8, s[64:65]
	v_accvgpr_read_b32 v8, a76
	s_waitcnt lgkmcnt(1)
	v_add_f32_e32 v80, v6, v4
	ds_bpermute_b32 v4, v152, v8
	v_cndmask_b32_e64 v6, -v242, v242, s[64:65]
	s_waitcnt lgkmcnt(1)
	v_add_f32_e32 v94, v6, v2
	ds_bpermute_b32 v2, v152, v246
	v_cndmask_b32_e64 v6, -v8, v8, s[64:65]
	v_accvgpr_read_b32 v8, a74
	s_waitcnt lgkmcnt(1)
	v_add_f32_e32 v76, v6, v4
	ds_bpermute_b32 v4, v152, v8
	v_cndmask_b32_e64 v6, -v246, v246, s[64:65]
	s_waitcnt lgkmcnt(1)
	v_add_f32_e32 v90, v6, v2
	ds_bpermute_b32 v2, v152, v86
	v_cndmask_b32_e64 v6, -v8, v8, s[64:65]
	v_accvgpr_read_b32 v8, a72
	s_waitcnt lgkmcnt(1)
	v_add_f32_e32 v72, v6, v4
	ds_bpermute_b32 v4, v152, v8
	v_cndmask_b32_e64 v6, -v86, v86, s[64:65]
	s_waitcnt lgkmcnt(1)
	v_add_f32_e32 v86, v6, v2
	ds_bpermute_b32 v2, v152, v82
	v_cndmask_b32_e64 v6, -v8, v8, s[64:65]
	v_accvgpr_read_b32 v8, a70
	s_waitcnt lgkmcnt(1)
	v_add_f32_e32 v68, v6, v4
	ds_bpermute_b32 v4, v152, v8
	v_cndmask_b32_e64 v6, -v82, v82, s[64:65]
	s_waitcnt lgkmcnt(1)
	v_add_f32_e32 v82, v6, v2
	ds_bpermute_b32 v2, v152, v78
	v_cndmask_b32_e64 v6, -v8, v8, s[64:65]
	v_accvgpr_read_b32 v8, a68
	s_waitcnt lgkmcnt(1)
	v_add_f32_e32 v62, v6, v4
	ds_bpermute_b32 v4, v152, v8
	v_cndmask_b32_e64 v6, -v78, v78, s[64:65]
	s_waitcnt lgkmcnt(1)
	v_add_f32_e32 v78, v6, v2
	ds_bpermute_b32 v2, v152, v74
	v_cndmask_b32_e64 v6, -v8, v8, s[64:65]
	v_accvgpr_read_b32 v8, a66
	s_waitcnt lgkmcnt(1)
	v_add_f32_e32 v56, v6, v4
	ds_bpermute_b32 v4, v152, v8
	v_cndmask_b32_e64 v6, -v74, v74, s[64:65]
	s_waitcnt lgkmcnt(1)
	v_add_f32_e32 v74, v6, v2
	ds_bpermute_b32 v2, v152, v70
	v_cndmask_b32_e64 v6, -v8, v8, s[64:65]
	v_accvgpr_read_b32 v8, a64
	s_waitcnt lgkmcnt(1)
	v_add_f32_e32 v50, v6, v4
	ds_bpermute_b32 v4, v152, v8
	v_cndmask_b32_e64 v6, -v70, v70, s[64:65]
	s_waitcnt lgkmcnt(1)
	v_add_f32_e32 v70, v6, v2
	ds_bpermute_b32 v2, v152, v66
	v_cndmask_b32_e64 v6, -v8, v8, s[64:65]
	v_accvgpr_read_b32 v8, a62
	s_waitcnt lgkmcnt(1)
	v_add_f32_e32 v46, v6, v4
	ds_bpermute_b32 v4, v152, v8
	v_cndmask_b32_e64 v6, -v66, v66, s[64:65]
	s_waitcnt lgkmcnt(1)
	v_add_f32_e32 v66, v6, v2
	ds_bpermute_b32 v2, v152, v252
	v_cndmask_b32_e64 v6, -v8, v8, s[64:65]
	s_waitcnt lgkmcnt(1)
	v_add_f32_e32 v42, v6, v4
	ds_bpermute_b32 v4, v152, v24
	v_cndmask_b32_e64 v6, -v252, v252, s[64:65]
	s_waitcnt lgkmcnt(1)
	v_add_f32_e32 v64, v6, v2
	ds_bpermute_b32 v2, v152, v188
	v_cndmask_b32_e64 v6, -v24, v24, s[64:65]
	;; [unrolled: 4-line block ×10, first 2 shown]
	v_accvgpr_read_b32 v8, a60
	s_waitcnt lgkmcnt(1)
	v_add_f32_e32 v22, v6, v4
	ds_bpermute_b32 v4, v152, v8
	v_cndmask_b32_e64 v6, -v178, v178, s[64:65]
	s_waitcnt lgkmcnt(1)
	v_add_f32_e32 v48, v6, v2
	ds_bpermute_b32 v2, v152, v174
	v_cndmask_b32_e64 v6, -v8, v8, s[64:65]
	;; [unrolled: 4-line block ×4, first 2 shown]
	v_accvgpr_read_b32 v8, a58
	s_waitcnt lgkmcnt(1)
	v_add_f32_e32 v14, v6, v4
	ds_bpermute_b32 v4, v152, v8
	v_cndmask_b32_e64 v6, -v250, v250, s[64:65]
	s_waitcnt lgkmcnt(1)
	v_add_f32_e32 v40, v6, v2
	ds_bpermute_b32 v2, v152, v36
	v_cndmask_b32_e64 v6, -v8, v8, s[64:65]
	v_accvgpr_read_b32 v8, a56
	s_waitcnt lgkmcnt(1)
	v_add_f32_e32 v12, v6, v4
	ds_bpermute_b32 v4, v152, v8
	v_cndmask_b32_e64 v6, -v36, v36, s[64:65]
	s_waitcnt lgkmcnt(1)
	v_add_f32_e32 v36, v6, v2
	ds_bpermute_b32 v2, v152, v32
	v_cndmask_b32_e64 v6, -v8, v8, s[64:65]
	;; [unrolled: 9-line block ×5, first 2 shown]
	s_waitcnt lgkmcnt(1)
	v_add_f32_e32 v131, v2, v4
	v_accvgpr_read_b32 v20, a48
	v_cndmask_b32_e64 v4, -v198, v198, s[64:65]
	ds_bpermute_b32 v2, v152, v20
	s_waitcnt lgkmcnt(1)
	v_add_f32_e32 v132, v4, v9
	v_xor_b32_e32 v9, 2, v1
	ds_bpermute_b32 v18, v152, v254
	v_cmp_lt_i32_e64 s[4:5], v9, v177
	v_cndmask_b32_e64 v9, v1, v9, s[4:5]
	v_lshlrev_b32_e32 v153, 2, v9
	v_cndmask_b32_e64 v4, -v20, v20, s[64:65]
	ds_bpermute_b32 v9, v153, v35
	s_waitcnt lgkmcnt(2)
	v_add_f32_e32 v2, v4, v2
	v_cndmask_b32_e64 v4, -v254, v254, s[64:65]
	s_waitcnt lgkmcnt(1)
	v_add_f32_e32 v4, v4, v18
	v_and_b32_e32 v18, 2, v179
	v_cmp_eq_u32_e64 s[66:67], 0, v18
	v_cndmask_b32_e64 v18, -v35, v35, s[66:67]
	ds_bpermute_b32 v20, v153, v41
	s_waitcnt lgkmcnt(1)
	v_add_f32_e32 v18, v18, v9
	ds_bpermute_b32 v9, v153, v37
	v_cndmask_b32_e64 v35, -v41, v41, s[66:67]
	v_cndmask_b32_e64 v37, -v37, v37, s[66:67]
	s_waitcnt lgkmcnt(1)
	v_add_f32_e32 v20, v35, v20
	ds_bpermute_b32 v35, v153, v31
	s_waitcnt lgkmcnt(1)
	v_add_f32_e32 v37, v37, v9
	ds_bpermute_b32 v9, v153, v7
	ds_bpermute_b32 v41, v153, v29
	v_cndmask_b32_e64 v31, -v31, v31, s[66:67]
	v_cndmask_b32_e64 v7, -v7, v7, s[66:67]
	s_waitcnt lgkmcnt(2)
	v_add_f32_e32 v35, v31, v35
	s_waitcnt lgkmcnt(1)
	v_add_f32_e32 v31, v7, v9
	v_cndmask_b32_e64 v9, -v29, v29, s[66:67]
	ds_bpermute_b32 v7, v153, v25
	s_waitcnt lgkmcnt(1)
	v_add_f32_e32 v29, v9, v41
	ds_bpermute_b32 v9, v153, v23
	v_cndmask_b32_e64 v25, -v25, v25, s[66:67]
	v_cndmask_b32_e64 v23, -v23, v23, s[66:67]
	s_waitcnt lgkmcnt(1)
	v_add_f32_e32 v25, v25, v7
	ds_bpermute_b32 v7, v153, v5
	s_waitcnt lgkmcnt(1)
	v_add_f32_e32 v23, v23, v9
	ds_bpermute_b32 v9, v153, v3
	ds_bpermute_b32 v41, v153, v0
	v_cndmask_b32_e64 v5, -v5, v5, s[66:67]
	v_cndmask_b32_e64 v3, -v3, v3, s[66:67]
	s_waitcnt lgkmcnt(2)
	v_add_f32_e32 v5, v5, v7
	s_waitcnt lgkmcnt(1)
	v_add_f32_e32 v7, v3, v9
	ds_bpermute_b32 v3, v153, v11
	v_cndmask_b32_e64 v0, -v0, v0, s[66:67]
	s_waitcnt lgkmcnt(1)
	v_add_f32_e32 v9, v0, v41
	ds_bpermute_b32 v0, v153, v13
	v_cndmask_b32_e64 v11, -v11, v11, s[66:67]
	;; [unrolled: 4-line block ×114, first 2 shown]
	s_waitcnt lgkmcnt(1)
	v_add_f32_e32 v24, v24, v3
	v_cndmask_b32_e64 v3, -v131, v131, s[66:67]
	ds_bpermute_b32 v131, v153, v4
	s_waitcnt lgkmcnt(1)
	v_add_f32_e32 v129, v3, v0
	ds_bpermute_b32 v0, v153, v2
	v_cndmask_b32_e64 v2, -v2, v2, s[66:67]
	ds_bpermute_b32 v130, v153, v132
	v_cndmask_b32_e64 v3, -v132, v132, s[66:67]
	s_waitcnt lgkmcnt(0)
	v_add_f32_e32 v2, v2, v0
	v_cndmask_b32_e64 v0, -v4, v4, s[66:67]
	v_add_f32_e32 v4, v0, v131
	v_xor_b32_e32 v0, 4, v1
	v_cmp_lt_i32_e64 s[4:5], v0, v177
	v_cndmask_b32_e64 v0, v1, v0, s[4:5]
	v_lshlrev_b32_e32 v131, 2, v0
	ds_bpermute_b32 v0, v131, v18
	v_add_f32_e32 v130, v3, v130
	v_and_b32_e32 v3, 4, v179
	v_cmp_eq_u32_e64 s[4:5], 0, v3
	ds_bpermute_b32 v132, v131, v20
	v_cndmask_b32_e64 v3, -v18, v18, s[4:5]
	s_waitcnt lgkmcnt(1)
	v_add_f32_e32 v18, v3, v0
	ds_bpermute_b32 v0, v131, v37
	v_cndmask_b32_e64 v3, -v20, v20, s[4:5]
	s_waitcnt lgkmcnt(1)
	v_add_f32_e32 v20, v3, v132
	;; [unrolled: 4-line block ×124, first 2 shown]
	v_cndmask_b32_e64 v3, -v129, v129, s[4:5]
	ds_bpermute_b32 v132, v131, v130
	s_waitcnt lgkmcnt(1)
	v_add_f32_e32 v129, v3, v0
	ds_bpermute_b32 v0, v131, v2
	ds_bpermute_b32 v131, v131, v4
	v_cndmask_b32_e64 v2, -v2, v2, s[4:5]
	v_cndmask_b32_e64 v3, -v130, v130, s[4:5]
	s_waitcnt lgkmcnt(2)
	v_add_f32_e32 v130, v3, v132
	s_waitcnt lgkmcnt(1)
	v_add_f32_e32 v2, v2, v0
	v_cndmask_b32_e64 v0, -v4, v4, s[4:5]
	s_waitcnt lgkmcnt(0)
	v_add_f32_e32 v4, v0, v131
	v_xor_b32_e32 v0, 8, v1
	v_cmp_lt_i32_e64 s[4:5], v0, v177
	v_cndmask_b32_e64 v0, v1, v0, s[4:5]
	v_lshlrev_b32_e32 v131, 2, v0
	ds_bpermute_b32 v0, v131, v18
	v_and_b32_e32 v3, 8, v179
	v_cmp_eq_u32_e64 s[4:5], 0, v3
	ds_bpermute_b32 v132, v131, v20
	v_cndmask_b32_e64 v3, -v18, v18, s[4:5]
	s_waitcnt lgkmcnt(1)
	v_add_f32_e32 v18, v3, v0
	ds_bpermute_b32 v0, v131, v37
	v_cndmask_b32_e64 v3, -v20, v20, s[4:5]
	s_waitcnt lgkmcnt(1)
	v_add_f32_e32 v20, v3, v132
	;; [unrolled: 4-line block ×124, first 2 shown]
	v_cndmask_b32_e64 v3, -v129, v129, s[4:5]
	ds_bpermute_b32 v129, v131, v130
	s_waitcnt lgkmcnt(1)
	v_add_f32_e32 v173, v3, v0
	ds_bpermute_b32 v0, v131, v2
	v_cndmask_b32_e64 v3, -v130, v130, s[4:5]
	ds_bpermute_b32 v130, v131, v4
	v_cndmask_b32_e64 v2, -v2, v2, s[4:5]
	s_waitcnt lgkmcnt(2)
	v_add_f32_e32 v174, v3, v129
	s_waitcnt lgkmcnt(1)
	v_add_f32_e32 v2, v2, v0
	v_cndmask_b32_e64 v0, -v4, v4, s[4:5]
	s_waitcnt lgkmcnt(0)
	v_add_f32_e32 v4, v0, v130
	v_xor_b32_e32 v0, 16, v1
	v_cmp_lt_i32_e64 s[4:5], v0, v177
	v_cndmask_b32_e64 v0, v1, v0, s[4:5]
	v_lshlrev_b32_e32 v176, 2, v0
	ds_bpermute_b32 v0, v176, v18
	v_and_b32_e32 v3, 16, v179
	v_cmp_eq_u32_e64 s[4:5], 0, v3
	ds_bpermute_b32 v129, v176, v20
	v_cndmask_b32_e64 v3, -v18, v18, s[4:5]
	s_waitcnt lgkmcnt(1)
	v_add_f32_e32 v18, v3, v0
	ds_bpermute_b32 v0, v176, v37
	v_cndmask_b32_e64 v3, -v20, v20, s[4:5]
	s_waitcnt lgkmcnt(1)
	v_add_f32_e32 v20, v3, v129
	;; [unrolled: 4-line block ×124, first 2 shown]
	v_cndmask_b32_e64 v3, -v173, v173, s[4:5]
	ds_bpermute_b32 v6, v176, v4
	s_waitcnt lgkmcnt(1)
	v_add_f32_e32 v175, v3, v0
	ds_bpermute_b32 v0, v176, v2
	v_cndmask_b32_e64 v2, -v2, v2, s[4:5]
	ds_bpermute_b32 v5, v176, v174
	v_cndmask_b32_e64 v3, -v174, v174, s[4:5]
	s_barrier
	s_waitcnt lgkmcnt(1)
	v_add_f32_e32 v173, v2, v0
	v_cndmask_b32_e64 v0, -v4, v4, s[4:5]
	v_add_f32_e32 v174, v0, v6
	v_xor_b32_e32 v0, 32, v1
	v_cmp_lt_i32_e64 s[4:5], v0, v177
	v_cndmask_b32_e64 v0, v1, v0, s[4:5]
	v_lshlrev_b32_e32 v1, 2, v0
	ds_bpermute_b32 v0, v1, v18
	v_and_b32_e32 v2, 32, v179
	v_cmp_eq_u32_e64 s[4:5], 0, v2
	s_waitcnt lgkmcnt(1)
	v_add_f32_e32 v176, v3, v5
	ds_bpermute_b32 v3, v1, v20
	v_cndmask_b32_e64 v2, -v18, v18, s[4:5]
	s_waitcnt lgkmcnt(1)
	v_add_f32_e32 v2, v2, v0
	ds_bpermute_b32 v0, v1, v37
	v_cndmask_b32_e64 v4, -v20, v20, s[4:5]
	;; [unrolled: 4-line block ×124, first 2 shown]
	s_waitcnt lgkmcnt(1)
	v_add_f32_e32 v163, v71, v70
	v_cndmask_b32_e64 v70, -v175, v175, s[4:5]
	ds_bpermute_b32 v71, v1, v176
	s_waitcnt lgkmcnt(1)
	v_add_f32_e32 v164, v70, v0
	ds_bpermute_b32 v0, v1, v173
	ds_bpermute_b32 v1, v1, v174
	v_cndmask_b32_e64 v70, -v176, v176, s[4:5]
	s_waitcnt lgkmcnt(2)
	v_add_f32_e32 v165, v70, v71
	v_cndmask_b32_e64 v70, -v173, v173, s[4:5]
	s_waitcnt lgkmcnt(1)
	v_add_f32_e32 v166, v70, v0
	;; [unrolled: 3-line block ×3, first 2 shown]
	v_lshrrev_b32_e32 v0, 6, v179
	v_and_b32_e32 v1, 3, v179
	v_lshrrev_b32_e32 v70, 2, v179
	v_xor_b32_e32 v0, v0, v179
	v_lshl_add_u32 v154, v0, 4, 0
	v_lshl_or_b32 v0, v1, 6, v70
	v_xor_b32_e32 v0, v0, v1
	v_lshl_add_u32 v155, v0, 4, 0
	ds_write_b128 v154, v[2:5]
	ds_write_b128 v154, v[6:9] offset:4096
	ds_write_b128 v154, v[10:13] offset:8192
	;; [unrolled: 1-line block ×7, first 2 shown]
	s_waitcnt lgkmcnt(0)
	s_barrier
	ds_read_b128 v[168:171], v155
	ds_read_b128 v[172:175], v155 offset:4096
	ds_read_b128 v[176:179], v155 offset:8192
	;; [unrolled: 1-line block ×7, first 2 shown]
	s_waitcnt lgkmcnt(0)
	s_barrier
	ds_write_b128 v154, v[34:37]
	ds_write_b128 v154, v[38:41] offset:4096
	ds_write_b128 v154, v[42:45] offset:8192
	;; [unrolled: 1-line block ×7, first 2 shown]
	ds_bpermute_b32 v64, v152, v168
	ds_bpermute_b32 v65, v152, v169
	s_waitcnt lgkmcnt(0)
	s_barrier
	ds_read_b128 v[72:75], v155
	ds_read_b128 v[92:95], v155 offset:4096
	ds_read_b128 v[128:131], v155 offset:8192
	;; [unrolled: 1-line block ×7, first 2 shown]
	s_waitcnt lgkmcnt(0)
	s_barrier
	ds_write_b128 v154, v[66:69]
	ds_write_b128 v154, v[76:79] offset:4096
	ds_write_b128 v154, v[80:83] offset:8192
	ds_write_b128 v154, v[84:87] offset:12288
	ds_write_b128 v154, v[88:91] offset:16384
	ds_write_b128 v154, v[96:99] offset:20480
	ds_write_b128 v154, v[100:103] offset:24576
	ds_write_b128 v154, v[104:107] offset:28672
	v_cndmask_b32_e64 v66, -v168, v168, s[64:65]
	v_add_f32_e32 v64, v66, v64
	ds_bpermute_b32 v66, v152, v170
	v_cndmask_b32_e64 v67, -v169, v169, s[64:65]
	v_add_f32_e32 v65, v67, v65
	ds_bpermute_b32 v67, v152, v171
	v_cndmask_b32_e64 v76, -v170, v170, s[64:65]
	s_waitcnt lgkmcnt(1)
	v_add_f32_e32 v66, v76, v66
	ds_bpermute_b32 v76, v152, v172
	v_cndmask_b32_e64 v77, -v171, v171, s[64:65]
	s_waitcnt lgkmcnt(1)
	;; [unrolled: 4-line block ×15, first 2 shown]
	s_barrier
	ds_read_b128 v[112:115], v155
	ds_read_b128 v[88:91], v155 offset:4096
	ds_read_b128 v[84:87], v155 offset:8192
	ds_read_b128 v[80:83], v155 offset:12288
	ds_read_b128 v[68:71], v155 offset:16384
	ds_read_b128 v[52:55], v155 offset:20480
	ds_read_b128 v[36:39], v155 offset:24576
	ds_read_b128 v[32:35], v155 offset:28672
	s_waitcnt lgkmcnt(0)
	s_barrier
	ds_write_b128 v154, v[108:111]
	ds_write_b128 v154, v[120:123] offset:4096
	ds_write_b128 v154, v[132:135] offset:8192
	;; [unrolled: 1-line block ×7, first 2 shown]
	v_add_f32_e32 v108, v78, v76
	ds_bpermute_b32 v76, v152, v150
	v_cndmask_b32_e64 v78, -v149, v149, s[64:65]
	v_add_f32_e32 v109, v78, v77
	ds_bpermute_b32 v77, v152, v151
	v_cndmask_b32_e64 v78, -v150, v150, s[64:65]
	s_waitcnt lgkmcnt(1)
	v_add_f32_e32 v110, v78, v76
	ds_bpermute_b32 v76, v152, v136
	v_cndmask_b32_e64 v78, -v151, v151, s[64:65]
	s_waitcnt lgkmcnt(1)
	;; [unrolled: 4-line block ×12, first 2 shown]
	v_add_f32_e32 v117, v77, v78
	v_cndmask_b32_e64 v77, -v118, v118, s[64:65]
	ds_bpermute_b32 v118, v152, v128
	ds_bpermute_b32 v79, v152, v119
	s_waitcnt lgkmcnt(2)
	v_add_f32_e32 v164, v77, v76
	v_cndmask_b32_e64 v76, -v119, v119, s[64:65]
	ds_bpermute_b32 v119, v152, v129
	v_cndmask_b32_e64 v120, -v128, v128, s[64:65]
	s_waitcnt lgkmcnt(2)
	v_add_f32_e32 v166, v120, v118
	ds_bpermute_b32 v118, v152, v130
	v_cndmask_b32_e64 v120, -v129, v129, s[64:65]
	s_waitcnt lgkmcnt(1)
	v_add_f32_e32 v167, v120, v119
	;; [unrolled: 4-line block ×20, first 2 shown]
	v_cndmask_b32_e64 v40, -v40, v40, s[64:65]
	ds_bpermute_b32 v45, v152, v41
	s_waitcnt lgkmcnt(1)
	v_add_f32_e32 v156, v40, v44
	ds_bpermute_b32 v40, v152, v42
	ds_bpermute_b32 v44, v152, v43
	v_cndmask_b32_e64 v41, -v41, v41, s[64:65]
	s_waitcnt lgkmcnt(2)
	v_add_f32_e32 v157, v41, v45
	v_cndmask_b32_e64 v41, -v42, v42, s[64:65]
	s_waitcnt lgkmcnt(1)
	v_add_f32_e32 v151, v41, v40
	;; [unrolled: 3-line block ×3, first 2 shown]
	ds_bpermute_b32 v40, v153, v64
	ds_bpermute_b32 v41, v153, v65
	v_cndmask_b32_e64 v42, -v64, v64, s[66:67]
	v_cndmask_b32_e64 v43, -v97, v97, s[66:67]
	;; [unrolled: 1-line block ×3, first 2 shown]
	s_waitcnt lgkmcnt(1)
	v_add_f32_e32 v44, v42, v40
	ds_bpermute_b32 v40, v153, v66
	v_cndmask_b32_e64 v42, -v65, v65, s[66:67]
	s_waitcnt lgkmcnt(1)
	v_add_f32_e32 v45, v42, v41
	ds_bpermute_b32 v41, v153, v67
	v_cndmask_b32_e64 v42, -v66, v66, s[66:67]
	;; [unrolled: 4-line block ×22, first 2 shown]
	s_waitcnt lgkmcnt(1)
	v_add_f32_e32 v66, v96, v66
	ds_bpermute_b32 v96, v153, v146
	v_add_f32_e32 v165, v76, v79
	s_waitcnt lgkmcnt(1)
	v_add_f32_e32 v67, v97, v67
	ds_bpermute_b32 v97, v153, v147
	v_cndmask_b32_e64 v99, -v167, v167, s[66:67]
	s_waitcnt lgkmcnt(1)
	v_add_f32_e32 v158, v98, v96
	ds_bpermute_b32 v96, v153, v148
	v_cndmask_b32_e64 v98, -v147, v147, s[66:67]
	s_waitcnt lgkmcnt(1)
	v_add_f32_e32 v159, v98, v97
	ds_bpermute_b32 v97, v153, v149
	v_cndmask_b32_e64 v98, -v148, v148, s[66:67]
	s_waitcnt lgkmcnt(1)
	v_add_f32_e32 v160, v98, v96
	ds_bpermute_b32 v96, v153, v116
	v_cndmask_b32_e64 v98, -v149, v149, s[66:67]
	s_waitcnt lgkmcnt(1)
	v_add_f32_e32 v161, v98, v97
	ds_bpermute_b32 v97, v153, v117
	v_cndmask_b32_e64 v98, -v116, v116, s[66:67]
	s_waitcnt lgkmcnt(1)
	v_add_f32_e32 v162, v98, v96
	ds_bpermute_b32 v96, v153, v164
	v_cndmask_b32_e64 v98, -v117, v117, s[66:67]
	s_waitcnt lgkmcnt(1)
	v_add_f32_e32 v163, v98, v97
	ds_bpermute_b32 v97, v153, v165
	v_cndmask_b32_e64 v98, -v164, v164, s[66:67]
	s_waitcnt lgkmcnt(1)
	v_add_f32_e32 v164, v98, v96
	ds_bpermute_b32 v96, v153, v166
	v_cndmask_b32_e64 v98, -v165, v165, s[66:67]
	s_waitcnt lgkmcnt(1)
	v_add_f32_e32 v165, v98, v97
	ds_bpermute_b32 v97, v153, v167
	v_cndmask_b32_e64 v98, -v166, v166, s[66:67]
	s_waitcnt lgkmcnt(1)
	v_add_f32_e32 v96, v98, v96
	ds_bpermute_b32 v98, v153, v168
	v_cndmask_b32_e64 v100, -v168, v168, s[66:67]
	s_waitcnt lgkmcnt(1)
	v_add_f32_e32 v97, v99, v97
	ds_bpermute_b32 v99, v153, v169
	v_cndmask_b32_e64 v101, -v169, v169, s[66:67]
	s_waitcnt lgkmcnt(1)
	v_add_f32_e32 v98, v100, v98
	ds_bpermute_b32 v100, v153, v170
	v_cndmask_b32_e64 v102, -v170, v170, s[66:67]
	s_waitcnt lgkmcnt(1)
	v_add_f32_e32 v99, v101, v99
	ds_bpermute_b32 v101, v153, v171
	ds_bpermute_b32 v104, v153, v173
	s_waitcnt lgkmcnt(2)
	v_add_f32_e32 v100, v102, v100
	ds_bpermute_b32 v102, v153, v172
	ds_bpermute_b32 v105, v153, v174
	v_cndmask_b32_e64 v103, -v171, v171, s[66:67]
	ds_bpermute_b32 v106, v153, v175
	s_waitcnt lgkmcnt(4)
	v_add_f32_e32 v101, v103, v101
	v_cndmask_b32_e64 v103, -v172, v172, s[66:67]
	s_waitcnt lgkmcnt(2)
	v_add_f32_e32 v102, v103, v102
	v_cndmask_b32_e64 v103, -v173, v173, s[66:67]
	v_add_f32_e32 v103, v103, v104
	v_cndmask_b32_e64 v104, -v174, v174, s[66:67]
	s_waitcnt lgkmcnt(1)
	v_add_f32_e32 v104, v104, v105
	v_cndmask_b32_e64 v105, -v175, v175, s[66:67]
	s_waitcnt lgkmcnt(0)
	v_add_f32_e32 v105, v105, v106
	ds_bpermute_b32 v106, v153, v176
	ds_bpermute_b32 v108, v153, v177
	;; [unrolled: 1-line block ×7, first 2 shown]
	s_waitcnt lgkmcnt(0)
	s_barrier
	ds_read_b128 v[28:31], v155
	ds_read_b128 v[24:27], v155 offset:4096
	ds_read_b128 v[20:23], v155 offset:8192
	;; [unrolled: 1-line block ×7, first 2 shown]
	ds_bpermute_b32 v110, v153, v179
	s_waitcnt lgkmcnt(0)
	s_barrier
	ds_write_b128 v155, v[44:47]
	ds_bpermute_b32 v44, v153, v180
	v_cndmask_b32_e64 v107, -v176, v176, s[66:67]
	v_add_f32_e32 v106, v107, v106
	v_cndmask_b32_e64 v107, -v177, v177, s[66:67]
	v_add_f32_e32 v107, v107, v108
	v_cndmask_b32_e64 v108, -v178, v178, s[66:67]
	v_cndmask_b32_e64 v73, -v73, v73, s[64:65]
	;; [unrolled: 1-line block ×5, first 2 shown]
	v_add_f32_e32 v108, v108, v109
	v_cndmask_b32_e64 v109, -v179, v179, s[66:67]
	v_cndmask_b32_e64 v45, -v180, v180, s[66:67]
	ds_bpermute_b32 v46, v153, v181
	v_pk_add_f32 v[74:75], v[74:75], v[78:79]
	v_pk_add_f32 v[72:73], v[72:73], v[76:77]
	v_add_f32_e32 v109, v109, v110
	s_waitcnt lgkmcnt(1)
	v_add_f32_e32 v110, v45, v44
	ds_bpermute_b32 v44, v153, v182
	ds_bpermute_b32 v76, v153, v72
	;; [unrolled: 1-line block ×6, first 2 shown]
	v_cndmask_b32_e64 v45, -v181, v181, s[66:67]
	s_waitcnt lgkmcnt(6)
	v_add_f32_e32 v111, v45, v46
	v_cndmask_b32_e64 v45, -v182, v182, s[66:67]
	v_cndmask_b32_e64 v73, -v73, v73, s[66:67]
	;; [unrolled: 1-line block ×5, first 2 shown]
	s_waitcnt lgkmcnt(5)
	v_add_f32_e32 v116, v45, v44
	v_cndmask_b32_e64 v44, -v183, v183, s[66:67]
	ds_write_b128 v155, v[40:43] offset:4096
	ds_write_b128 v155, v[48:51] offset:8192
	;; [unrolled: 1-line block ×7, first 2 shown]
	s_waitcnt lgkmcnt(8)
	v_pk_add_f32 v[160:161], v[74:75], v[78:79]
	v_pk_add_f32 v[158:159], v[72:73], v[76:77]
	ds_bpermute_b32 v138, v152, v92
	s_waitcnt lgkmcnt(8)
	v_add_f32_e32 v117, v44, v47
	s_waitcnt lgkmcnt(0)
	s_barrier
	ds_read_b128 v[40:43], v154
	ds_read_b128 v[44:47], v154 offset:4096
	ds_read_b128 v[48:51], v154 offset:8192
	;; [unrolled: 1-line block ×7, first 2 shown]
	s_waitcnt lgkmcnt(0)
	s_barrier
	ds_write_b128 v155, v[158:161]
	v_cndmask_b32_e64 v158, -v92, v92, s[64:65]
	ds_bpermute_b32 v92, v153, v118
	ds_bpermute_b32 v139, v152, v93
	;; [unrolled: 1-line block ×4, first 2 shown]
	v_cndmask_b32_e64 v159, -v93, v93, s[64:65]
	v_cndmask_b32_e64 v93, -v118, v118, s[66:67]
	ds_bpermute_b32 v160, v153, v119
	s_waitcnt lgkmcnt(4)
	v_add_f32_e32 v118, v93, v92
	ds_bpermute_b32 v92, v153, v156
	v_cndmask_b32_e64 v95, -v95, v95, s[64:65]
	v_cndmask_b32_e64 v94, -v94, v94, s[64:65]
	;; [unrolled: 1-line block ×3, first 2 shown]
	s_waitcnt lgkmcnt(1)
	v_add_f32_e32 v119, v93, v160
	v_cndmask_b32_e64 v93, -v156, v156, s[66:67]
	v_pk_add_f32 v[94:95], v[94:95], v[140:141]
	ds_bpermute_b32 v134, v152, v88
	ds_bpermute_b32 v135, v152, v89
	;; [unrolled: 1-line block ×5, first 2 shown]
	s_waitcnt lgkmcnt(5)
	v_add_f32_e32 v92, v93, v92
	v_cndmask_b32_e64 v93, -v157, v157, s[66:67]
	v_pk_add_f32 v[138:139], v[158:159], v[138:139]
	ds_bpermute_b32 v156, v153, v94
	ds_bpermute_b32 v157, v153, v95
	;; [unrolled: 1-line block ×8, first 2 shown]
	v_cndmask_b32_e64 v95, -v95, v95, s[66:67]
	v_cndmask_b32_e64 v94, -v94, v94, s[66:67]
	;; [unrolled: 1-line block ×8, first 2 shown]
	s_waitcnt lgkmcnt(6)
	v_pk_add_f32 v[158:159], v[94:95], v[156:157]
	ds_bpermute_b32 v94, v153, v151
	v_cndmask_b32_e64 v113, -v113, v113, s[64:65]
	v_cndmask_b32_e64 v112, -v112, v112, s[64:65]
	;; [unrolled: 1-line block ×4, first 2 shown]
	v_pk_add_f32 v[90:91], v[90:91], v[136:137]
	v_pk_add_f32 v[88:89], v[88:89], v[134:135]
	ds_bpermute_b32 v130, v152, v84
	ds_bpermute_b32 v131, v152, v85
	;; [unrolled: 1-line block ×4, first 2 shown]
	s_waitcnt lgkmcnt(5)
	v_pk_add_f32 v[156:157], v[138:139], v[140:141]
	ds_bpermute_b32 v140, v153, v150
	v_pk_add_f32 v[114:115], v[114:115], v[122:123]
	v_pk_add_f32 v[112:113], v[112:113], v[120:121]
	ds_bpermute_b32 v134, v153, v88
	ds_bpermute_b32 v135, v153, v89
	;; [unrolled: 1-line block ×8, first 2 shown]
	v_cndmask_b32_e64 v95, -v151, v151, s[66:67]
	s_waitcnt lgkmcnt(13)
	v_add_f32_e32 v94, v95, v94
	v_cndmask_b32_e64 v95, -v150, v150, s[66:67]
	v_cndmask_b32_e64 v89, -v89, v89, s[66:67]
	;; [unrolled: 1-line block ×9, first 2 shown]
	v_add_f32_e32 v93, v93, v161
	s_waitcnt lgkmcnt(8)
	v_add_f32_e32 v95, v95, v140
	v_cndmask_b32_e64 v113, -v113, v113, s[66:67]
	v_cndmask_b32_e64 v112, -v112, v112, s[66:67]
	;; [unrolled: 1-line block ×4, first 2 shown]
	s_waitcnt lgkmcnt(4)
	v_pk_add_f32 v[90:91], v[90:91], v[136:137]
	v_pk_add_f32 v[88:89], v[88:89], v[134:135]
	;; [unrolled: 1-line block ×4, first 2 shown]
	ds_bpermute_b32 v124, v152, v80
	ds_bpermute_b32 v125, v152, v81
	;; [unrolled: 1-line block ×4, first 2 shown]
	ds_write_b128 v155, v[156:159] offset:4096
	ds_write_b128 v155, v[96:99] offset:8192
	;; [unrolled: 1-line block ×7, first 2 shown]
	s_waitcnt lgkmcnt(0)
	s_barrier
	ds_read_b128 v[92:95], v154
	ds_read_b128 v[96:99], v154 offset:4096
	ds_read_b128 v[100:103], v154 offset:8192
	;; [unrolled: 1-line block ×5, first 2 shown]
	v_pk_add_f32 v[158:159], v[114:115], v[122:123]
	v_pk_add_f32 v[156:157], v[112:113], v[120:121]
	ds_read_b128 v[112:115], v154 offset:24576
	ds_read_b128 v[120:123], v154 offset:28672
	s_waitcnt lgkmcnt(0)
	s_barrier
	ds_write_b128 v155, v[88:91] offset:4096
	ds_bpermute_b32 v88, v153, v84
	ds_bpermute_b32 v89, v153, v85
	ds_bpermute_b32 v90, v153, v86
	ds_bpermute_b32 v91, v153, v87
	v_cndmask_b32_e64 v85, -v85, v85, s[66:67]
	v_cndmask_b32_e64 v84, -v84, v84, s[66:67]
	v_cndmask_b32_e64 v87, -v87, v87, s[66:67]
	v_cndmask_b32_e64 v86, -v86, v86, s[66:67]
	v_cndmask_b32_e64 v81, -v81, v81, s[64:65]
	v_cndmask_b32_e64 v80, -v80, v80, s[64:65]
	v_cndmask_b32_e64 v83, -v83, v83, s[64:65]
	v_cndmask_b32_e64 v82, -v82, v82, s[64:65]
	s_waitcnt lgkmcnt(0)
	v_pk_add_f32 v[86:87], v[86:87], v[90:91]
	v_pk_add_f32 v[84:85], v[84:85], v[88:89]
	v_pk_add_f32 v[82:83], v[82:83], v[128:129]
	v_pk_add_f32 v[80:81], v[80:81], v[124:125]
	ds_bpermute_b32 v126, v152, v68
	ds_bpermute_b32 v127, v152, v69
	ds_bpermute_b32 v146, v152, v70
	ds_bpermute_b32 v147, v152, v71
	ds_write_b128 v155, v[84:87] offset:8192
	ds_bpermute_b32 v84, v153, v80
	ds_bpermute_b32 v85, v153, v81
	ds_bpermute_b32 v86, v153, v82
	ds_bpermute_b32 v87, v153, v83
	v_cndmask_b32_e64 v81, -v81, v81, s[66:67]
	v_cndmask_b32_e64 v80, -v80, v80, s[66:67]
	v_cndmask_b32_e64 v83, -v83, v83, s[66:67]
	v_cndmask_b32_e64 v82, -v82, v82, s[66:67]
	v_cndmask_b32_e64 v69, -v69, v69, s[64:65]
	v_cndmask_b32_e64 v68, -v68, v68, s[64:65]
	v_cndmask_b32_e64 v71, -v71, v71, s[64:65]
	v_cndmask_b32_e64 v70, -v70, v70, s[64:65]
	s_waitcnt lgkmcnt(0)
	v_pk_add_f32 v[82:83], v[82:83], v[86:87]
	v_pk_add_f32 v[80:81], v[80:81], v[84:85]
	v_pk_add_f32 v[70:71], v[70:71], v[146:147]
	v_pk_add_f32 v[68:69], v[68:69], v[126:127]
	ds_bpermute_b32 v142, v152, v52
	ds_bpermute_b32 v143, v152, v53
	ds_bpermute_b32 v148, v152, v54
	ds_bpermute_b32 v149, v152, v55
	ds_write_b128 v155, v[80:83] offset:12288
	ds_bpermute_b32 v80, v153, v68
	ds_bpermute_b32 v81, v153, v69
	ds_bpermute_b32 v82, v153, v70
	ds_bpermute_b32 v83, v153, v71
	v_cndmask_b32_e64 v69, -v69, v69, s[66:67]
	v_cndmask_b32_e64 v68, -v68, v68, s[66:67]
	v_cndmask_b32_e64 v71, -v71, v71, s[66:67]
	v_cndmask_b32_e64 v70, -v70, v70, s[66:67]
	v_cndmask_b32_e64 v53, -v53, v53, s[64:65]
	v_cndmask_b32_e64 v52, -v52, v52, s[64:65]
	v_cndmask_b32_e64 v55, -v55, v55, s[64:65]
	v_cndmask_b32_e64 v54, -v54, v54, s[64:65]
	s_waitcnt lgkmcnt(0)
	v_pk_add_f32 v[70:71], v[70:71], v[82:83]
	v_pk_add_f32 v[68:69], v[68:69], v[80:81]
	v_pk_add_f32 v[54:55], v[54:55], v[148:149]
	v_pk_add_f32 v[52:53], v[52:53], v[142:143]
	ds_bpermute_b32 v144, v152, v36
	ds_bpermute_b32 v145, v152, v37
	ds_bpermute_b32 v194, v152, v38
	ds_bpermute_b32 v195, v152, v39
	ds_write_b128 v155, v[68:71] offset:16384
	ds_bpermute_b32 v68, v153, v52
	ds_bpermute_b32 v69, v153, v53
	ds_bpermute_b32 v70, v153, v54
	ds_bpermute_b32 v71, v153, v55
	v_cndmask_b32_e64 v53, -v53, v53, s[66:67]
	v_cndmask_b32_e64 v52, -v52, v52, s[66:67]
	v_cndmask_b32_e64 v55, -v55, v55, s[66:67]
	v_cndmask_b32_e64 v54, -v54, v54, s[66:67]
	v_cndmask_b32_e64 v37, -v37, v37, s[64:65]
	v_cndmask_b32_e64 v36, -v36, v36, s[64:65]
	v_cndmask_b32_e64 v39, -v39, v39, s[64:65]
	v_cndmask_b32_e64 v38, -v38, v38, s[64:65]
	s_waitcnt lgkmcnt(0)
	v_pk_add_f32 v[54:55], v[54:55], v[70:71]
	v_pk_add_f32 v[52:53], v[52:53], v[68:69]
	v_pk_add_f32 v[38:39], v[38:39], v[194:195]
	v_pk_add_f32 v[36:37], v[36:37], v[144:145]
	ds_bpermute_b32 v192, v152, v32
	ds_bpermute_b32 v193, v152, v33
	ds_bpermute_b32 v200, v152, v34
	ds_bpermute_b32 v201, v152, v35
	ds_bpermute_b32 v138, v152, v28
	ds_bpermute_b32 v139, v152, v29
	;; [unrolled: 1-line block ×4, first 2 shown]
	ds_write_b128 v155, v[52:55] offset:20480
	ds_bpermute_b32 v52, v153, v36
	ds_bpermute_b32 v53, v153, v37
	;; [unrolled: 1-line block ×4, first 2 shown]
	v_cndmask_b32_e64 v37, -v37, v37, s[66:67]
	v_cndmask_b32_e64 v36, -v36, v36, s[66:67]
	;; [unrolled: 1-line block ×12, first 2 shown]
	s_waitcnt lgkmcnt(0)
	v_pk_add_f32 v[38:39], v[38:39], v[54:55]
	v_pk_add_f32 v[36:37], v[36:37], v[52:53]
	;; [unrolled: 1-line block ×6, first 2 shown]
	ds_bpermute_b32 v204, v152, v24
	ds_bpermute_b32 v205, v152, v25
	;; [unrolled: 1-line block ×4, first 2 shown]
	ds_write_b128 v155, v[36:39] offset:24576
	ds_bpermute_b32 v36, v153, v32
	ds_bpermute_b32 v37, v153, v33
	;; [unrolled: 1-line block ×8, first 2 shown]
	v_cndmask_b32_e64 v33, -v33, v33, s[66:67]
	v_cndmask_b32_e64 v32, -v32, v32, s[66:67]
	;; [unrolled: 1-line block ×12, first 2 shown]
	s_waitcnt lgkmcnt(4)
	v_pk_add_f32 v[34:35], v[34:35], v[38:39]
	v_pk_add_f32 v[32:33], v[32:33], v[36:37]
	s_waitcnt lgkmcnt(0)
	v_pk_add_f32 v[140:141], v[144:145], v[140:141]
	v_pk_add_f32 v[138:139], v[142:143], v[138:139]
	;; [unrolled: 1-line block ×4, first 2 shown]
	ds_write_b128 v155, v[156:159]
	ds_bpermute_b32 v198, v152, v20
	ds_bpermute_b32 v199, v152, v21
	;; [unrolled: 1-line block ×4, first 2 shown]
	ds_write_b128 v155, v[32:35] offset:28672
	s_waitcnt lgkmcnt(0)
	s_barrier
	ds_read_b128 v[32:35], v154
	ds_read_b128 v[36:39], v154 offset:4096
	ds_read_b128 v[52:55], v154 offset:8192
	;; [unrolled: 1-line block ×7, first 2 shown]
	s_waitcnt lgkmcnt(0)
	s_barrier
	ds_write_b128 v155, v[138:141]
	ds_bpermute_b32 v138, v153, v24
	ds_bpermute_b32 v139, v153, v25
	ds_bpermute_b32 v140, v153, v26
	ds_bpermute_b32 v141, v153, v27
	v_cndmask_b32_e64 v25, -v25, v25, s[66:67]
	v_cndmask_b32_e64 v24, -v24, v24, s[66:67]
	v_cndmask_b32_e64 v27, -v27, v27, s[66:67]
	v_cndmask_b32_e64 v26, -v26, v26, s[66:67]
	v_cndmask_b32_e64 v21, -v21, v21, s[64:65]
	v_cndmask_b32_e64 v20, -v20, v20, s[64:65]
	v_cndmask_b32_e64 v23, -v23, v23, s[64:65]
	v_cndmask_b32_e64 v22, -v22, v22, s[64:65]
	s_waitcnt lgkmcnt(0)
	v_pk_add_f32 v[26:27], v[26:27], v[140:141]
	v_pk_add_f32 v[24:25], v[24:25], v[138:139]
	v_pk_add_f32 v[22:23], v[22:23], v[202:203]
	v_pk_add_f32 v[20:21], v[20:21], v[198:199]
	ds_bpermute_b32 v190, v152, v16
	ds_bpermute_b32 v191, v152, v17
	ds_bpermute_b32 v196, v152, v18
	ds_bpermute_b32 v197, v152, v19
	ds_write_b128 v155, v[24:27] offset:4096
	ds_bpermute_b32 v24, v153, v20
	ds_bpermute_b32 v25, v153, v21
	ds_bpermute_b32 v26, v153, v22
	ds_bpermute_b32 v27, v153, v23
	v_cndmask_b32_e64 v21, -v21, v21, s[66:67]
	v_cndmask_b32_e64 v20, -v20, v20, s[66:67]
	v_cndmask_b32_e64 v23, -v23, v23, s[66:67]
	v_cndmask_b32_e64 v22, -v22, v22, s[66:67]
	v_cndmask_b32_e64 v17, -v17, v17, s[64:65]
	v_cndmask_b32_e64 v16, -v16, v16, s[64:65]
	v_cndmask_b32_e64 v19, -v19, v19, s[64:65]
	v_cndmask_b32_e64 v18, -v18, v18, s[64:65]
	s_waitcnt lgkmcnt(0)
	v_pk_add_f32 v[22:23], v[22:23], v[26:27]
	v_pk_add_f32 v[20:21], v[20:21], v[24:25]
	v_pk_add_f32 v[18:19], v[18:19], v[196:197]
	v_pk_add_f32 v[16:17], v[16:17], v[190:191]
	ds_bpermute_b32 v136, v152, v12
	ds_bpermute_b32 v137, v152, v13
	ds_bpermute_b32 v150, v152, v14
	ds_bpermute_b32 v151, v152, v15
	ds_write_b128 v155, v[20:23] offset:8192
	;; [unrolled: 22-line block ×5, first 2 shown]
	ds_bpermute_b32 v8, v153, v4
	ds_bpermute_b32 v9, v153, v5
	;; [unrolled: 1-line block ×4, first 2 shown]
	v_cndmask_b32_e64 v5, -v5, v5, s[66:67]
	v_cndmask_b32_e64 v4, -v4, v4, s[66:67]
	;; [unrolled: 1-line block ×8, first 2 shown]
	s_waitcnt lgkmcnt(0)
	v_pk_add_f32 v[6:7], v[6:7], v[10:11]
	v_pk_add_f32 v[4:5], v[4:5], v[8:9]
	;; [unrolled: 1-line block ×4, first 2 shown]
	ds_write_b128 v155, v[4:7] offset:24576
	ds_bpermute_b32 v4, v153, v0
	ds_bpermute_b32 v5, v153, v1
	;; [unrolled: 1-line block ×4, first 2 shown]
	v_cndmask_b32_e64 v1, -v1, v1, s[66:67]
	v_cndmask_b32_e64 v0, -v0, v0, s[66:67]
	;; [unrolled: 1-line block ×4, first 2 shown]
	s_waitcnt lgkmcnt(0)
	v_pk_add_f32 v[2:3], v[2:3], v[6:7]
	v_pk_add_f32 v[0:1], v[0:1], v[4:5]
	ds_write_b128 v155, v[0:3] offset:28672
	s_waitcnt lgkmcnt(0)
	s_barrier
	ds_read_b128 v[0:3], v154
	ds_read_b128 v[4:7], v154 offset:4096
	ds_read_b128 v[8:11], v154 offset:8192
	;; [unrolled: 1-line block ×7, first 2 shown]
	v_pk_add_f32 v[208:209], v[40:41], v[44:45]
	v_pk_add_f32 v[214:215], v[48:49], v[56:57]
	;; [unrolled: 1-line block ×17, first 2 shown]
	s_waitcnt lgkmcnt(6)
	v_pk_add_f32 v[246:247], v[0:1], v[4:5]
	s_waitcnt lgkmcnt(4)
	v_pk_add_f32 v[248:249], v[8:9], v[12:13]
	;; [unrolled: 2-line block ×4, first 2 shown]
	v_pk_add_f32 v[138:139], v[194:195], v[196:197]
	v_accvgpr_write_b32 a70, v128
	v_pk_add_f32 v[198:199], v[238:239], v[240:241]
	v_pk_add_f32 v[200:201], v[242:243], v[244:245]
	;; [unrolled: 1-line block ×4, first 2 shown]
	v_accvgpr_write_b32 a71, v129
	v_pk_add_f32 v[128:129], v[128:129], v[138:139]
	v_pk_add_f32 v[140:141], v[198:199], v[200:201]
	;; [unrolled: 1-line block ×3, first 2 shown]
	v_accvgpr_write_b32 a48, v128
	v_pk_add_f32 v[152:153], v[42:43], v[46:47]
	v_pk_add_f32 v[154:155], v[50:51], v[58:59]
	;; [unrolled: 1-line block ×8, first 2 shown]
	v_accvgpr_write_b32 a49, v129
	v_pk_add_f32 v[128:129], v[140:141], v[142:143]
	v_pk_add_f32 v[206:207], v[152:153], v[154:155]
	;; [unrolled: 1-line block ×5, first 2 shown]
	s_mul_i32 s4, s74, s7
	s_mul_hi_u32 s5, s74, s6
	v_accvgpr_write_b32 a50, v128
	v_pk_add_f32 v[168:169], v[34:35], v[38:39]
	v_pk_add_f32 v[170:171], v[54:55], v[70:71]
	;; [unrolled: 1-line block ×10, first 2 shown]
	s_add_i32 s4, s5, s4
	s_mul_i32 s5, s75, s6
	v_accvgpr_write_b32 a51, v129
	v_pk_add_f32 v[220:221], v[168:169], v[170:171]
	v_pk_add_f32 v[226:227], v[172:173], v[174:175]
	;; [unrolled: 1-line block ×5, first 2 shown]
	s_add_i32 s5, s4, s5
	s_mul_i32 s4, s74, s6
	v_pk_add_f32 v[148:149], v[220:221], v[226:227]
	v_pk_add_f32 v[150:151], v[228:229], v[234:235]
	v_accvgpr_write_b32 a52, v128
	s_lshl_b64 s[4:5], s[4:5], 2
	v_accvgpr_write_b32 a53, v129
	v_pk_add_f32 v[128:129], v[148:149], v[150:151]
	s_add_u32 s4, s78, s4
	v_accvgpr_write_b32 a54, v128
	s_addc_u32 s5, s79, s5
	s_mov_b32 s73, s72
	v_accvgpr_write_b32 a55, v129
	s_and_saveexec_b64 s[6:7], s[48:49]
	s_cbranch_execz .LBB12_66
; %bb.65:
	v_accvgpr_read_b32 v129, a49
	v_accvgpr_read_b32 v131, a51
	;; [unrolled: 1-line block ×4, first 2 shown]
	v_pk_add_f32 v[128:129], v[128:129], v[130:131]
	v_accvgpr_read_b32 v131, a53
	v_accvgpr_read_b32 v133, a55
	v_accvgpr_read_b32 v130, a52
	v_accvgpr_read_b32 v132, a54
	v_pk_add_f32 v[130:131], v[130:131], v[132:133]
	v_pk_mul_f32 v[128:129], s[72:73], v[128:129]
	v_pk_mul_f32 v[130:131], s[72:73], v[130:131]
	v_accvgpr_read_b32 v132, a15
	global_store_dwordx4 v132, v[128:131], s[4:5]
.LBB12_66:
	s_or_b64 exec, exec, s[6:7]
	v_pk_add_f32 v[184:185], v[40:41], v[44:45] neg_lo:[0,1] neg_hi:[0,1]
	v_pk_add_f32 v[48:49], v[48:49], v[56:57] neg_lo:[0,1] neg_hi:[0,1]
	;; [unrolled: 1-line block ×11, first 2 shown]
	v_pk_add_f32 v[56:57], v[184:185], v[48:49]
	v_pk_add_f32 v[58:59], v[64:65], v[186:187]
	;; [unrolled: 1-line block ×4, first 2 shown]
	v_pk_add_f32 v[128:129], v[42:43], v[46:47] neg_lo:[0,1] neg_hi:[0,1]
	v_pk_add_f32 v[46:47], v[32:33], v[36:37] neg_lo:[0,1] neg_hi:[0,1]
	;; [unrolled: 1-line block ×12, first 2 shown]
	v_pk_add_f32 v[12:13], v[56:57], v[58:59]
	v_pk_add_f32 v[14:15], v[60:61], v[62:63]
	v_pk_add_f32 v[54:55], v[54:55], v[70:71] neg_lo:[0,1] neg_hi:[0,1]
	v_pk_add_f32 v[66:67], v[46:47], v[52:53]
	v_pk_add_f32 v[70:71], v[68:69], v[82:83]
	;; [unrolled: 1-line block ×5, first 2 shown]
	v_pk_add_f32 v[92:93], v[94:95], v[98:99] neg_lo:[0,1] neg_hi:[0,1]
	v_pk_add_f32 v[132:133], v[102:103], v[106:107] neg_lo:[0,1] neg_hi:[0,1]
	;; [unrolled: 1-line block ×5, first 2 shown]
	v_pk_add_f32 v[16:17], v[66:67], v[70:71]
	v_pk_add_f32 v[18:19], v[72:73], v[76:77]
	v_accvgpr_write_b32 a57, v3
	v_pk_add_f32 v[84:85], v[30:31], v[90:91] neg_lo:[0,1] neg_hi:[0,1]
	v_accvgpr_write_b32 a56, v2
	v_pk_add_f32 v[2:3], v[16:17], v[18:19]
	v_pk_add_f32 v[88:89], v[128:129], v[50:51]
	;; [unrolled: 1-line block ×5, first 2 shown]
	v_pk_add_f32 v[136:137], v[34:35], v[38:39] neg_lo:[0,1] neg_hi:[0,1]
	v_pk_add_f32 v[126:127], v[26:27], v[126:127] neg_lo:[0,1] neg_hi:[0,1]
	v_accvgpr_write_b32 a59, v3
	v_pk_add_f32 v[20:21], v[88:89], v[90:91]
	v_pk_add_f32 v[22:23], v[94:95], v[96:97]
	v_accvgpr_write_b32 a58, v2
	v_pk_add_f32 v[98:99], v[136:137], v[54:55]
	v_pk_add_f32 v[102:103], v[80:81], v[84:85]
	;; [unrolled: 1-line block ×7, first 2 shown]
	v_accvgpr_write_b32 a61, v3
	v_accvgpr_write_b32 a60, v2
	v_pk_add_f32 v[2:3], v[24:25], v[26:27]
	v_accvgpr_write_b32 a63, v3
	v_accvgpr_write_b32 a62, v2
	s_and_saveexec_b64 s[6:7], s[30:31]
	s_cbranch_execz .LBB12_68
; %bb.67:
	v_accvgpr_read_b32 v2, a56
	v_accvgpr_read_b32 v28, a58
	;; [unrolled: 1-line block ×4, first 2 shown]
	v_pk_add_f32 v[2:3], v[2:3], v[28:29]
	v_accvgpr_read_b32 v28, a60
	v_accvgpr_read_b32 v30, a62
	;; [unrolled: 1-line block ×4, first 2 shown]
	v_pk_add_f32 v[30:31], v[28:29], v[30:31]
	v_pk_mul_f32 v[28:29], s[72:73], v[2:3]
	v_pk_mul_f32 v[30:31], s[72:73], v[30:31]
	v_accvgpr_read_b32 v2, a13
	global_store_dwordx4 v2, v[28:31], s[4:5]
.LBB12_68:
	s_or_b64 exec, exec, s[6:7]
	v_pk_add_f32 v[108:109], v[208:209], v[214:215] neg_lo:[0,1] neg_hi:[0,1]
	v_pk_add_f32 v[110:111], v[216:217], v[222:223] neg_lo:[0,1] neg_hi:[0,1]
	;; [unrolled: 1-line block ×4, first 2 shown]
	v_pk_add_f32 v[28:29], v[108:109], v[110:111]
	v_pk_add_f32 v[30:31], v[112:113], v[114:115]
	v_pk_add_f32 v[116:117], v[238:239], v[240:241] neg_lo:[0,1] neg_hi:[0,1]
	v_pk_add_f32 v[118:119], v[242:243], v[244:245] neg_lo:[0,1] neg_hi:[0,1]
	;; [unrolled: 1-line block ×4, first 2 shown]
	v_pk_add_f32 v[2:3], v[28:29], v[30:31]
	v_pk_add_f32 v[32:33], v[116:117], v[118:119]
	;; [unrolled: 1-line block ×3, first 2 shown]
	v_accvgpr_write_b32 a65, v3
	v_accvgpr_write_b32 a64, v2
	v_pk_add_f32 v[2:3], v[32:33], v[34:35]
	v_pk_add_f32 v[230:231], v[152:153], v[154:155] neg_lo:[0,1] neg_hi:[0,1]
	v_pk_add_f32 v[238:239], v[156:157], v[158:159] neg_lo:[0,1] neg_hi:[0,1]
	;; [unrolled: 1-line block ×4, first 2 shown]
	v_accvgpr_write_b32 a67, v3
	v_pk_add_f32 v[36:37], v[230:231], v[238:239]
	v_pk_add_f32 v[38:39], v[240:241], v[242:243]
	v_accvgpr_write_b32 a66, v2
	v_pk_add_f32 v[246:247], v[168:169], v[170:171] neg_lo:[0,1] neg_hi:[0,1]
	v_pk_add_f32 v[254:255], v[172:173], v[174:175] neg_lo:[0,1] neg_hi:[0,1]
	;; [unrolled: 1-line block ×4, first 2 shown]
	v_pk_add_f32 v[2:3], v[36:37], v[38:39]
	v_pk_add_f32 v[40:41], v[246:247], v[254:255]
	;; [unrolled: 1-line block ×3, first 2 shown]
	v_accvgpr_write_b32 a69, v3
	v_accvgpr_write_b32 a68, v2
	v_pk_add_f32 v[2:3], v[40:41], v[42:43]
	s_and_saveexec_b64 s[6:7], s[22:23]
	s_cbranch_execz .LBB12_70
; %bb.69:
	v_accvgpr_read_b32 v155, a65
	v_accvgpr_read_b32 v157, a67
	v_accvgpr_read_b32 v154, a64
	v_accvgpr_read_b32 v156, a66
	v_pk_add_f32 v[154:155], v[154:155], v[156:157]
	v_accvgpr_read_b32 v157, a69
	v_accvgpr_read_b32 v156, a68
	v_pk_add_f32 v[156:157], v[156:157], v[2:3]
	v_pk_mul_f32 v[154:155], s[72:73], v[154:155]
	v_pk_mul_f32 v[156:157], s[72:73], v[156:157]
	v_accvgpr_read_b32 v158, a11
	global_store_dwordx4 v158, v[154:157], s[4:5]
.LBB12_70:
	s_or_b64 exec, exec, s[6:7]
	v_pk_add_f32 v[154:155], v[184:185], v[48:49] neg_lo:[0,1] neg_hi:[0,1]
	v_pk_add_f32 v[156:157], v[64:65], v[186:187] neg_lo:[0,1] neg_hi:[0,1]
	;; [unrolled: 1-line block ×16, first 2 shown]
	v_pk_add_f32 v[48:49], v[154:155], v[156:157]
	v_pk_add_f32 v[50:51], v[162:163], v[166:167]
	v_pk_add_f32 v[52:53], v[170:171], v[174:175]
	v_pk_add_f32 v[54:55], v[178:179], v[182:183]
	v_pk_add_f32 v[120:121], v[158:159], v[160:161]
	v_pk_add_f32 v[122:123], v[164:165], v[168:169]
	v_pk_add_f32 v[124:125], v[172:173], v[176:177]
	v_pk_add_f32 v[126:127], v[180:181], v[184:185]
	v_pk_add_f32 v[64:65], v[48:49], v[50:51]
	v_pk_add_f32 v[68:69], v[52:53], v[54:55]
	v_pk_add_f32 v[82:83], v[120:121], v[122:123]
	v_pk_add_f32 v[86:87], v[124:125], v[126:127]
	s_and_saveexec_b64 s[6:7], s[12:13]
	s_cbranch_execz .LBB12_72
; %bb.71:
	v_pk_add_f32 v[0:1], v[64:65], v[68:69]
	v_pk_add_f32 v[6:7], v[82:83], v[86:87]
	v_pk_mul_f32 v[4:5], s[72:73], v[0:1]
	v_pk_mul_f32 v[6:7], s[72:73], v[6:7]
	v_accvgpr_read_b32 v0, a7
	global_store_dwordx4 v0, v[4:7], s[4:5]
.LBB12_72:
	s_or_b64 exec, exec, s[6:7]
	v_pk_add_f32 v[190:191], v[190:191], v[192:193] neg_lo:[0,1] neg_hi:[0,1]
	v_pk_add_f32 v[192:193], v[194:195], v[196:197] neg_lo:[0,1] neg_hi:[0,1]
	v_pk_add_f32 v[194:195], v[198:199], v[200:201] neg_lo:[0,1] neg_hi:[0,1]
	v_pk_add_f32 v[196:197], v[202:203], v[204:205] neg_lo:[0,1] neg_hi:[0,1]
	v_pk_add_f32 v[198:199], v[206:207], v[210:211] neg_lo:[0,1] neg_hi:[0,1]
	v_pk_add_f32 v[204:205], v[212:213], v[218:219] neg_lo:[0,1] neg_hi:[0,1]
	v_pk_add_f32 v[206:207], v[220:221], v[226:227] neg_lo:[0,1] neg_hi:[0,1]
	v_pk_add_f32 v[208:209], v[228:229], v[234:235] neg_lo:[0,1] neg_hi:[0,1]
	v_pk_add_f32 v[74:75], v[190:191], v[192:193]
	v_pk_add_f32 v[78:79], v[194:195], v[196:197]
	v_pk_add_f32 v[92:93], v[198:199], v[204:205]
	v_pk_add_f32 v[100:101], v[206:207], v[208:209]
	s_and_saveexec_b64 s[6:7], s[8:9]
	s_cbranch_execz .LBB12_74
; %bb.73:
	v_pk_add_f32 v[0:1], v[74:75], v[78:79]
	v_pk_add_f32 v[6:7], v[92:93], v[100:101]
	v_pk_mul_f32 v[4:5], s[72:73], v[0:1]
	v_pk_mul_f32 v[6:7], s[72:73], v[6:7]
	v_accvgpr_read_b32 v0, a5
	global_store_dwordx4 v0, v[4:7], s[4:5]
.LBB12_74:
	s_or_b64 exec, exec, s[6:7]
	v_pk_add_f32 v[224:225], v[56:57], v[58:59] neg_lo:[0,1] neg_hi:[0,1]
	v_pk_add_f32 v[232:233], v[60:61], v[62:63] neg_lo:[0,1] neg_hi:[0,1]
	v_pk_add_f32 v[234:235], v[66:67], v[70:71] neg_lo:[0,1] neg_hi:[0,1]
	v_pk_add_f32 v[236:237], v[72:73], v[76:77] neg_lo:[0,1] neg_hi:[0,1]
	v_pk_add_f32 v[244:245], v[88:89], v[90:91] neg_lo:[0,1] neg_hi:[0,1]
	v_pk_add_f32 v[248:249], v[94:95], v[96:97] neg_lo:[0,1] neg_hi:[0,1]
	v_pk_add_f32 v[250:251], v[98:99], v[102:103] neg_lo:[0,1] neg_hi:[0,1]
	v_pk_add_f32 v[252:253], v[104:105], v[106:107] neg_lo:[0,1] neg_hi:[0,1]
	v_pk_add_f32 v[80:81], v[224:225], v[232:233]
	v_pk_add_f32 v[84:85], v[234:235], v[236:237]
	v_pk_add_f32 v[104:105], v[244:245], v[248:249]
	v_pk_add_f32 v[106:107], v[250:251], v[252:253]
	;; [unrolled: 23-line block ×4, first 2 shown]
	s_and_saveexec_b64 s[0:1], vcc
	s_cbranch_execz .LBB12_80
; %bb.79:
	v_pk_add_f32 v[0:1], v[112:113], v[114:115]
	v_pk_add_f32 v[6:7], v[116:117], v[118:119]
	v_pk_mul_f32 v[4:5], s[72:73], v[0:1]
	v_pk_mul_f32 v[6:7], s[72:73], v[6:7]
	v_accvgpr_read_b32 v0, a0
	global_store_dwordx4 v0, v[4:7], s[4:5]
.LBB12_80:
	s_or_b64 exec, exec, s[0:1]
	v_accvgpr_read_b32 v0, a70
	v_accvgpr_read_b32 v1, a71
	v_pk_add_f32 v[90:91], v[0:1], v[138:139] neg_lo:[0,1] neg_hi:[0,1]
	v_pk_add_f32 v[96:97], v[140:141], v[142:143] neg_lo:[0,1] neg_hi:[0,1]
	v_pk_add_f32 v[98:99], v[144:145], v[146:147] neg_lo:[0,1] neg_hi:[0,1]
	v_pk_add_f32 v[102:103], v[148:149], v[150:151] neg_lo:[0,1] neg_hi:[0,1]
	s_and_saveexec_b64 s[0:1], s[2:3]
	s_cbranch_execz .LBB12_82
; %bb.81:
	v_pk_add_f32 v[0:1], v[90:91], v[96:97]
	v_pk_add_f32 v[6:7], v[98:99], v[102:103]
	v_pk_mul_f32 v[4:5], s[72:73], v[0:1]
	v_pk_mul_f32 v[6:7], s[72:73], v[6:7]
	v_accvgpr_read_b32 v0, a2
	global_store_dwordx4 v0, v[4:7], s[4:5]
.LBB12_82:
	s_or_b64 exec, exec, s[0:1]
	v_pk_add_f32 v[66:67], v[12:13], v[14:15] neg_lo:[0,1] neg_hi:[0,1]
	v_pk_add_f32 v[70:71], v[16:17], v[18:19] neg_lo:[0,1] neg_hi:[0,1]
	v_pk_add_f32 v[72:73], v[20:21], v[22:23] neg_lo:[0,1] neg_hi:[0,1]
	v_pk_add_f32 v[76:77], v[24:25], v[26:27] neg_lo:[0,1] neg_hi:[0,1]
	s_and_saveexec_b64 s[0:1], s[70:71]
	s_cbranch_execz .LBB12_84
; %bb.83:
	v_pk_add_f32 v[0:1], v[66:67], v[70:71]
	v_pk_add_f32 v[6:7], v[72:73], v[76:77]
	v_pk_mul_f32 v[4:5], s[72:73], v[0:1]
	v_pk_mul_f32 v[6:7], s[72:73], v[6:7]
	v_accvgpr_read_b32 v0, a4
	global_store_dwordx4 v0, v[4:7], s[4:5]
.LBB12_84:
	s_or_b64 exec, exec, s[0:1]
	;; [unrolled: 15-line block ×5, first 2 shown]
	v_pk_add_f32 v[12:13], v[224:225], v[232:233] neg_lo:[0,1] neg_hi:[0,1]
	v_pk_add_f32 v[14:15], v[234:235], v[236:237] neg_lo:[0,1] neg_hi:[0,1]
	;; [unrolled: 1-line block ×4, first 2 shown]
	s_and_saveexec_b64 s[0:1], s[18:19]
	s_cbranch_execz .LBB12_92
; %bb.91:
	v_pk_add_f32 v[0:1], v[12:13], v[14:15]
	v_pk_mul_f32 v[4:5], s[72:73], v[0:1]
	v_accvgpr_read_b32 v0, a10
	v_mov_b32_e32 v1, 0
	v_lshlrev_b64 v[0:1], 4, v[0:1]
	v_pk_add_f32 v[6:7], v[16:17], v[18:19]
	v_mov_b32_e32 v8, s5
	v_add_co_u32_e32 v0, vcc, s4, v0
	v_pk_mul_f32 v[6:7], s[72:73], v[6:7]
	v_addc_co_u32_e32 v1, vcc, v8, v1, vcc
	global_store_dwordx4 v[0:1], v[4:7], off
.LBB12_92:
	s_or_b64 exec, exec, s[0:1]
	v_pk_add_f32 v[20:21], v[210:211], v[220:221] neg_lo:[0,1] neg_hi:[0,1]
	v_pk_add_f32 v[22:23], v[222:223], v[226:227] neg_lo:[0,1] neg_hi:[0,1]
	;; [unrolled: 1-line block ×4, first 2 shown]
	s_and_saveexec_b64 s[0:1], s[20:21]
	s_cbranch_execz .LBB12_94
; %bb.93:
	v_pk_add_f32 v[0:1], v[20:21], v[22:23]
	v_pk_mul_f32 v[4:5], s[72:73], v[0:1]
	v_accvgpr_read_b32 v0, a12
	v_mov_b32_e32 v1, 0
	v_lshlrev_b64 v[0:1], 4, v[0:1]
	v_pk_add_f32 v[6:7], v[24:25], v[28:29]
	v_mov_b32_e32 v8, s5
	v_add_co_u32_e32 v0, vcc, s4, v0
	v_pk_mul_f32 v[6:7], s[72:73], v[6:7]
	v_addc_co_u32_e32 v1, vcc, v8, v1, vcc
	global_store_dwordx4 v[0:1], v[4:7], off
.LBB12_94:
	s_or_b64 exec, exec, s[0:1]
	v_pk_add_f32 v[36:37], v[200:201], v[212:213] neg_lo:[0,1] neg_hi:[0,1]
	v_pk_add_f32 v[38:39], v[202:203], v[214:215] neg_lo:[0,1] neg_hi:[0,1]
	;; [unrolled: 1-line block ×4, first 2 shown]
	s_and_saveexec_b64 s[0:1], s[24:25]
	s_cbranch_execnz .LBB12_112
; %bb.95:
	s_or_b64 exec, exec, s[0:1]
	s_and_saveexec_b64 s[0:1], s[26:27]
	s_cbranch_execnz .LBB12_113
.LBB12_96:
	s_or_b64 exec, exec, s[0:1]
	s_and_saveexec_b64 s[0:1], s[28:29]
	s_cbranch_execnz .LBB12_114
.LBB12_97:
	s_or_b64 exec, exec, s[0:1]
	s_and_saveexec_b64 s[0:1], s[34:35]
	s_cbranch_execnz .LBB12_115
.LBB12_98:
	s_or_b64 exec, exec, s[0:1]
	s_and_saveexec_b64 s[0:1], s[36:37]
	s_cbranch_execnz .LBB12_116
.LBB12_99:
	s_or_b64 exec, exec, s[0:1]
	s_and_saveexec_b64 s[0:1], s[38:39]
	s_cbranch_execnz .LBB12_117
.LBB12_100:
	s_or_b64 exec, exec, s[0:1]
	s_and_saveexec_b64 s[0:1], s[40:41]
	s_cbranch_execnz .LBB12_118
.LBB12_101:
	s_or_b64 exec, exec, s[0:1]
	s_and_saveexec_b64 s[0:1], s[42:43]
	s_cbranch_execnz .LBB12_119
.LBB12_102:
	s_or_b64 exec, exec, s[0:1]
	s_and_saveexec_b64 s[0:1], s[44:45]
	s_cbranch_execnz .LBB12_120
.LBB12_103:
	s_or_b64 exec, exec, s[0:1]
	s_and_saveexec_b64 s[0:1], s[46:47]
	s_cbranch_execnz .LBB12_121
.LBB12_104:
	s_or_b64 exec, exec, s[0:1]
	s_and_saveexec_b64 s[0:1], s[50:51]
	s_cbranch_execnz .LBB12_122
.LBB12_105:
	s_or_b64 exec, exec, s[0:1]
	s_and_saveexec_b64 s[0:1], s[52:53]
	s_cbranch_execnz .LBB12_123
.LBB12_106:
	s_or_b64 exec, exec, s[0:1]
	s_and_saveexec_b64 s[0:1], s[54:55]
	s_cbranch_execnz .LBB12_124
.LBB12_107:
	s_or_b64 exec, exec, s[0:1]
	s_and_saveexec_b64 s[0:1], s[56:57]
	s_cbranch_execnz .LBB12_125
.LBB12_108:
	s_or_b64 exec, exec, s[0:1]
	s_and_saveexec_b64 s[0:1], s[58:59]
	s_cbranch_execnz .LBB12_126
.LBB12_109:
	s_or_b64 exec, exec, s[0:1]
	s_and_saveexec_b64 s[0:1], s[60:61]
	s_cbranch_execnz .LBB12_127
.LBB12_110:
	s_or_b64 exec, exec, s[0:1]
	s_and_saveexec_b64 s[0:1], s[62:63]
	s_cbranch_execnz .LBB12_128
.LBB12_111:
	s_endpgm
.LBB12_112:
	v_pk_add_f32 v[0:1], v[36:37], v[40:41]
	v_pk_mul_f32 v[4:5], s[72:73], v[0:1]
	v_accvgpr_read_b32 v0, a14
	v_mov_b32_e32 v1, 0
	v_lshlrev_b64 v[0:1], 4, v[0:1]
	v_pk_add_f32 v[6:7], v[38:39], v[42:43]
	v_mov_b32_e32 v8, s5
	v_add_co_u32_e32 v0, vcc, s4, v0
	v_pk_mul_f32 v[6:7], s[72:73], v[6:7]
	v_addc_co_u32_e32 v1, vcc, v8, v1, vcc
	global_store_dwordx4 v[0:1], v[4:7], off
	s_or_b64 exec, exec, s[0:1]
	s_and_saveexec_b64 s[0:1], s[26:27]
	s_cbranch_execz .LBB12_96
.LBB12_113:
	v_accvgpr_read_b32 v0, a48
	v_accvgpr_read_b32 v4, a50
	;; [unrolled: 1-line block ×4, first 2 shown]
	v_pk_add_f32 v[0:1], v[0:1], v[4:5] neg_lo:[0,1] neg_hi:[0,1]
	v_accvgpr_read_b32 v4, a52
	v_accvgpr_read_b32 v6, a54
	;; [unrolled: 1-line block ×4, first 2 shown]
	v_pk_add_f32 v[6:7], v[4:5], v[6:7] neg_lo:[0,1] neg_hi:[0,1]
	v_pk_mul_f32 v[4:5], s[72:73], v[0:1]
	v_accvgpr_read_b32 v0, a16
	v_mov_b32_e32 v1, 0
	v_lshlrev_b64 v[0:1], 4, v[0:1]
	v_mov_b32_e32 v8, s5
	v_add_co_u32_e32 v0, vcc, s4, v0
	v_pk_mul_f32 v[6:7], s[72:73], v[6:7]
	v_addc_co_u32_e32 v1, vcc, v8, v1, vcc
	global_store_dwordx4 v[0:1], v[4:7], off
	s_or_b64 exec, exec, s[0:1]
	s_and_saveexec_b64 s[0:1], s[28:29]
	s_cbranch_execz .LBB12_97
.LBB12_114:
	v_accvgpr_read_b32 v0, a56
	v_accvgpr_read_b32 v4, a58
	v_accvgpr_read_b32 v1, a57
	v_accvgpr_read_b32 v5, a59
	v_pk_add_f32 v[0:1], v[0:1], v[4:5] neg_lo:[0,1] neg_hi:[0,1]
	v_accvgpr_read_b32 v4, a60
	v_accvgpr_read_b32 v6, a62
	;; [unrolled: 1-line block ×4, first 2 shown]
	v_pk_add_f32 v[6:7], v[4:5], v[6:7] neg_lo:[0,1] neg_hi:[0,1]
	v_pk_mul_f32 v[4:5], s[72:73], v[0:1]
	v_accvgpr_read_b32 v0, a18
	v_mov_b32_e32 v1, 0
	v_lshlrev_b64 v[0:1], 4, v[0:1]
	v_mov_b32_e32 v8, s5
	v_add_co_u32_e32 v0, vcc, s4, v0
	v_pk_mul_f32 v[6:7], s[72:73], v[6:7]
	v_addc_co_u32_e32 v1, vcc, v8, v1, vcc
	global_store_dwordx4 v[0:1], v[4:7], off
	s_or_b64 exec, exec, s[0:1]
	s_and_saveexec_b64 s[0:1], s[34:35]
	s_cbranch_execz .LBB12_98
.LBB12_115:
	v_accvgpr_read_b32 v0, a64
	v_accvgpr_read_b32 v4, a66
	;; [unrolled: 1-line block ×4, first 2 shown]
	v_pk_add_f32 v[0:1], v[0:1], v[4:5] neg_lo:[0,1] neg_hi:[0,1]
	v_accvgpr_read_b32 v4, a68
	v_accvgpr_read_b32 v5, a69
	v_pk_add_f32 v[2:3], v[4:5], v[2:3] neg_lo:[0,1] neg_hi:[0,1]
	v_accvgpr_read_b32 v4, a20
	v_mov_b32_e32 v5, 0
	v_lshlrev_b64 v[4:5], 4, v[4:5]
	v_mov_b32_e32 v6, s5
	v_add_co_u32_e32 v4, vcc, s4, v4
	v_pk_mul_f32 v[0:1], s[72:73], v[0:1]
	v_pk_mul_f32 v[2:3], s[72:73], v[2:3]
	v_addc_co_u32_e32 v5, vcc, v6, v5, vcc
	global_store_dwordx4 v[4:5], v[0:3], off
	s_or_b64 exec, exec, s[0:1]
	s_and_saveexec_b64 s[0:1], s[36:37]
	s_cbranch_execz .LBB12_99
.LBB12_116:
	v_accvgpr_read_b32 v4, a22
	v_mov_b32_e32 v5, 0
	v_lshlrev_b64 v[4:5], 4, v[4:5]
	v_pk_add_f32 v[0:1], v[64:65], v[68:69] neg_lo:[0,1] neg_hi:[0,1]
	v_pk_add_f32 v[2:3], v[82:83], v[86:87] neg_lo:[0,1] neg_hi:[0,1]
	v_mov_b32_e32 v6, s5
	v_add_co_u32_e32 v4, vcc, s4, v4
	v_pk_mul_f32 v[0:1], s[72:73], v[0:1]
	v_pk_mul_f32 v[2:3], s[72:73], v[2:3]
	v_addc_co_u32_e32 v5, vcc, v6, v5, vcc
	global_store_dwordx4 v[4:5], v[0:3], off
	s_or_b64 exec, exec, s[0:1]
	s_and_saveexec_b64 s[0:1], s[38:39]
	s_cbranch_execz .LBB12_100
.LBB12_117:
	v_accvgpr_read_b32 v4, a24
	v_mov_b32_e32 v5, 0
	v_lshlrev_b64 v[4:5], 4, v[4:5]
	v_pk_add_f32 v[0:1], v[74:75], v[78:79] neg_lo:[0,1] neg_hi:[0,1]
	v_pk_add_f32 v[2:3], v[92:93], v[100:101] neg_lo:[0,1] neg_hi:[0,1]
	v_mov_b32_e32 v6, s5
	v_add_co_u32_e32 v4, vcc, s4, v4
	v_pk_mul_f32 v[0:1], s[72:73], v[0:1]
	v_pk_mul_f32 v[2:3], s[72:73], v[2:3]
	v_addc_co_u32_e32 v5, vcc, v6, v5, vcc
	global_store_dwordx4 v[4:5], v[0:3], off
	s_or_b64 exec, exec, s[0:1]
	s_and_saveexec_b64 s[0:1], s[40:41]
	s_cbranch_execz .LBB12_101
.LBB12_118:
	v_accvgpr_read_b32 v4, a26
	v_mov_b32_e32 v5, 0
	v_lshlrev_b64 v[4:5], 4, v[4:5]
	v_pk_add_f32 v[0:1], v[80:81], v[84:85] neg_lo:[0,1] neg_hi:[0,1]
	v_pk_add_f32 v[2:3], v[104:105], v[106:107] neg_lo:[0,1] neg_hi:[0,1]
	v_mov_b32_e32 v6, s5
	v_add_co_u32_e32 v4, vcc, s4, v4
	v_pk_mul_f32 v[0:1], s[72:73], v[0:1]
	v_pk_mul_f32 v[2:3], s[72:73], v[2:3]
	v_addc_co_u32_e32 v5, vcc, v6, v5, vcc
	global_store_dwordx4 v[4:5], v[0:3], off
	s_or_b64 exec, exec, s[0:1]
	s_and_saveexec_b64 s[0:1], s[42:43]
	s_cbranch_execz .LBB12_102
.LBB12_119:
	v_accvgpr_read_b32 v4, a28
	v_mov_b32_e32 v5, 0
	v_lshlrev_b64 v[4:5], 4, v[4:5]
	v_pk_add_f32 v[0:1], v[88:89], v[94:95] neg_lo:[0,1] neg_hi:[0,1]
	v_pk_add_f32 v[2:3], v[108:109], v[110:111] neg_lo:[0,1] neg_hi:[0,1]
	v_mov_b32_e32 v6, s5
	v_add_co_u32_e32 v4, vcc, s4, v4
	v_pk_mul_f32 v[0:1], s[72:73], v[0:1]
	v_pk_mul_f32 v[2:3], s[72:73], v[2:3]
	v_addc_co_u32_e32 v5, vcc, v6, v5, vcc
	global_store_dwordx4 v[4:5], v[0:3], off
	s_or_b64 exec, exec, s[0:1]
	s_and_saveexec_b64 s[0:1], s[44:45]
	s_cbranch_execz .LBB12_103
.LBB12_120:
	v_accvgpr_read_b32 v4, a30
	v_mov_b32_e32 v5, 0
	v_lshlrev_b64 v[4:5], 4, v[4:5]
	v_pk_add_f32 v[0:1], v[112:113], v[114:115] neg_lo:[0,1] neg_hi:[0,1]
	v_pk_add_f32 v[2:3], v[116:117], v[118:119] neg_lo:[0,1] neg_hi:[0,1]
	v_mov_b32_e32 v6, s5
	v_add_co_u32_e32 v4, vcc, s4, v4
	v_pk_mul_f32 v[0:1], s[72:73], v[0:1]
	v_pk_mul_f32 v[2:3], s[72:73], v[2:3]
	v_addc_co_u32_e32 v5, vcc, v6, v5, vcc
	global_store_dwordx4 v[4:5], v[0:3], off
	s_or_b64 exec, exec, s[0:1]
	s_and_saveexec_b64 s[0:1], s[46:47]
	s_cbranch_execz .LBB12_104
.LBB12_121:
	v_accvgpr_read_b32 v4, a32
	v_mov_b32_e32 v5, 0
	v_lshlrev_b64 v[4:5], 4, v[4:5]
	v_pk_add_f32 v[0:1], v[90:91], v[96:97] neg_lo:[0,1] neg_hi:[0,1]
	v_pk_add_f32 v[2:3], v[98:99], v[102:103] neg_lo:[0,1] neg_hi:[0,1]
	v_mov_b32_e32 v6, s5
	v_add_co_u32_e32 v4, vcc, s4, v4
	v_pk_mul_f32 v[0:1], s[72:73], v[0:1]
	v_pk_mul_f32 v[2:3], s[72:73], v[2:3]
	v_addc_co_u32_e32 v5, vcc, v6, v5, vcc
	global_store_dwordx4 v[4:5], v[0:3], off
	s_or_b64 exec, exec, s[0:1]
	s_and_saveexec_b64 s[0:1], s[50:51]
	s_cbranch_execz .LBB12_105
.LBB12_122:
	v_accvgpr_read_b32 v4, a34
	v_mov_b32_e32 v5, 0
	v_lshlrev_b64 v[4:5], 4, v[4:5]
	v_pk_add_f32 v[0:1], v[66:67], v[70:71] neg_lo:[0,1] neg_hi:[0,1]
	v_pk_add_f32 v[2:3], v[72:73], v[76:77] neg_lo:[0,1] neg_hi:[0,1]
	v_mov_b32_e32 v6, s5
	v_add_co_u32_e32 v4, vcc, s4, v4
	v_pk_mul_f32 v[0:1], s[72:73], v[0:1]
	v_pk_mul_f32 v[2:3], s[72:73], v[2:3]
	v_addc_co_u32_e32 v5, vcc, v6, v5, vcc
	global_store_dwordx4 v[4:5], v[0:3], off
	s_or_b64 exec, exec, s[0:1]
	s_and_saveexec_b64 s[0:1], s[52:53]
	s_cbranch_execz .LBB12_106
.LBB12_123:
	v_accvgpr_read_b32 v4, a36
	v_mov_b32_e32 v5, 0
	v_lshlrev_b64 v[4:5], 4, v[4:5]
	v_pk_add_f32 v[0:1], v[56:57], v[58:59] neg_lo:[0,1] neg_hi:[0,1]
	v_pk_add_f32 v[2:3], v[60:61], v[62:63] neg_lo:[0,1] neg_hi:[0,1]
	v_mov_b32_e32 v6, s5
	v_add_co_u32_e32 v4, vcc, s4, v4
	v_pk_mul_f32 v[0:1], s[72:73], v[0:1]
	v_pk_mul_f32 v[2:3], s[72:73], v[2:3]
	v_addc_co_u32_e32 v5, vcc, v6, v5, vcc
	global_store_dwordx4 v[4:5], v[0:3], off
	s_or_b64 exec, exec, s[0:1]
	s_and_saveexec_b64 s[0:1], s[54:55]
	s_cbranch_execz .LBB12_107
.LBB12_124:
	v_accvgpr_read_b32 v4, a38
	v_mov_b32_e32 v5, 0
	v_lshlrev_b64 v[4:5], 4, v[4:5]
	v_pk_add_f32 v[0:1], v[48:49], v[50:51] neg_lo:[0,1] neg_hi:[0,1]
	v_pk_add_f32 v[2:3], v[52:53], v[54:55] neg_lo:[0,1] neg_hi:[0,1]
	v_mov_b32_e32 v6, s5
	v_add_co_u32_e32 v4, vcc, s4, v4
	v_pk_mul_f32 v[0:1], s[72:73], v[0:1]
	v_pk_mul_f32 v[2:3], s[72:73], v[2:3]
	v_addc_co_u32_e32 v5, vcc, v6, v5, vcc
	global_store_dwordx4 v[4:5], v[0:3], off
	s_or_b64 exec, exec, s[0:1]
	s_and_saveexec_b64 s[0:1], s[56:57]
	s_cbranch_execz .LBB12_108
.LBB12_125:
	v_accvgpr_read_b32 v4, a40
	v_mov_b32_e32 v5, 0
	v_lshlrev_b64 v[4:5], 4, v[4:5]
	v_pk_add_f32 v[0:1], v[26:27], v[30:31] neg_lo:[0,1] neg_hi:[0,1]
	v_pk_add_f32 v[2:3], v[32:33], v[34:35] neg_lo:[0,1] neg_hi:[0,1]
	v_mov_b32_e32 v6, s5
	v_add_co_u32_e32 v4, vcc, s4, v4
	v_pk_mul_f32 v[0:1], s[72:73], v[0:1]
	v_pk_mul_f32 v[2:3], s[72:73], v[2:3]
	v_addc_co_u32_e32 v5, vcc, v6, v5, vcc
	global_store_dwordx4 v[4:5], v[0:3], off
	s_or_b64 exec, exec, s[0:1]
	s_and_saveexec_b64 s[0:1], s[58:59]
	s_cbranch_execz .LBB12_109
.LBB12_126:
	v_accvgpr_read_b32 v4, a42
	v_mov_b32_e32 v5, 0
	v_lshlrev_b64 v[4:5], 4, v[4:5]
	v_pk_add_f32 v[0:1], v[12:13], v[14:15] neg_lo:[0,1] neg_hi:[0,1]
	v_pk_add_f32 v[2:3], v[16:17], v[18:19] neg_lo:[0,1] neg_hi:[0,1]
	v_mov_b32_e32 v6, s5
	v_add_co_u32_e32 v4, vcc, s4, v4
	v_pk_mul_f32 v[0:1], s[72:73], v[0:1]
	v_pk_mul_f32 v[2:3], s[72:73], v[2:3]
	v_addc_co_u32_e32 v5, vcc, v6, v5, vcc
	global_store_dwordx4 v[4:5], v[0:3], off
	s_or_b64 exec, exec, s[0:1]
	s_and_saveexec_b64 s[0:1], s[60:61]
	s_cbranch_execz .LBB12_110
.LBB12_127:
	v_accvgpr_read_b32 v4, a44
	v_mov_b32_e32 v5, 0
	v_lshlrev_b64 v[4:5], 4, v[4:5]
	v_pk_add_f32 v[0:1], v[20:21], v[22:23] neg_lo:[0,1] neg_hi:[0,1]
	v_pk_add_f32 v[2:3], v[24:25], v[28:29] neg_lo:[0,1] neg_hi:[0,1]
	v_mov_b32_e32 v6, s5
	v_add_co_u32_e32 v4, vcc, s4, v4
	v_pk_mul_f32 v[0:1], s[72:73], v[0:1]
	v_pk_mul_f32 v[2:3], s[72:73], v[2:3]
	v_addc_co_u32_e32 v5, vcc, v6, v5, vcc
	global_store_dwordx4 v[4:5], v[0:3], off
	s_or_b64 exec, exec, s[0:1]
	s_and_saveexec_b64 s[0:1], s[62:63]
	s_cbranch_execz .LBB12_111
.LBB12_128:
	v_accvgpr_read_b32 v4, a46
	v_mov_b32_e32 v5, 0
	v_lshlrev_b64 v[4:5], 4, v[4:5]
	v_pk_add_f32 v[0:1], v[36:37], v[40:41] neg_lo:[0,1] neg_hi:[0,1]
	v_pk_add_f32 v[2:3], v[38:39], v[42:43] neg_lo:[0,1] neg_hi:[0,1]
	v_mov_b32_e32 v6, s5
	v_add_co_u32_e32 v4, vcc, s4, v4
	v_pk_mul_f32 v[0:1], s[72:73], v[0:1]
	v_pk_mul_f32 v[2:3], s[72:73], v[2:3]
	v_addc_co_u32_e32 v5, vcc, v6, v5, vcc
	global_store_dwordx4 v[4:5], v[0:3], off
	s_endpgm
	.section	.rodata,"a",@progbits
	.p2align	6, 0x0
	.amdhsa_kernel _Z30fast_hadamard_transform_kernelI37fast_hadamard_transform_kernel_traitsILi256ELi15EfEEv18HadamardParamsBase
		.amdhsa_group_segment_fixed_size 0
		.amdhsa_private_segment_fixed_size 0
		.amdhsa_kernarg_size 312
		.amdhsa_user_sgpr_count 6
		.amdhsa_user_sgpr_private_segment_buffer 1
		.amdhsa_user_sgpr_dispatch_ptr 0
		.amdhsa_user_sgpr_queue_ptr 0
		.amdhsa_user_sgpr_kernarg_segment_ptr 1
		.amdhsa_user_sgpr_dispatch_id 0
		.amdhsa_user_sgpr_flat_scratch_init 0
		.amdhsa_user_sgpr_kernarg_preload_length 0
		.amdhsa_user_sgpr_kernarg_preload_offset 0
		.amdhsa_user_sgpr_private_segment_size 0
		.amdhsa_uses_dynamic_stack 0
		.amdhsa_system_sgpr_private_segment_wavefront_offset 0
		.amdhsa_system_sgpr_workgroup_id_x 1
		.amdhsa_system_sgpr_workgroup_id_y 0
		.amdhsa_system_sgpr_workgroup_id_z 0
		.amdhsa_system_sgpr_workgroup_info 0
		.amdhsa_system_vgpr_workitem_id 0
		.amdhsa_next_free_vgpr 354
		.amdhsa_next_free_sgpr 80
		.amdhsa_accum_offset 256
		.amdhsa_reserve_vcc 1
		.amdhsa_reserve_flat_scratch 0
		.amdhsa_float_round_mode_32 0
		.amdhsa_float_round_mode_16_64 0
		.amdhsa_float_denorm_mode_32 3
		.amdhsa_float_denorm_mode_16_64 3
		.amdhsa_dx10_clamp 1
		.amdhsa_ieee_mode 1
		.amdhsa_fp16_overflow 0
		.amdhsa_tg_split 0
		.amdhsa_exception_fp_ieee_invalid_op 0
		.amdhsa_exception_fp_denorm_src 0
		.amdhsa_exception_fp_ieee_div_zero 0
		.amdhsa_exception_fp_ieee_overflow 0
		.amdhsa_exception_fp_ieee_underflow 0
		.amdhsa_exception_fp_ieee_inexact 0
		.amdhsa_exception_int_div_zero 0
	.end_amdhsa_kernel
	.section	.text._Z30fast_hadamard_transform_kernelI37fast_hadamard_transform_kernel_traitsILi256ELi15EfEEv18HadamardParamsBase,"axG",@progbits,_Z30fast_hadamard_transform_kernelI37fast_hadamard_transform_kernel_traitsILi256ELi15EfEEv18HadamardParamsBase,comdat
.Lfunc_end12:
	.size	_Z30fast_hadamard_transform_kernelI37fast_hadamard_transform_kernel_traitsILi256ELi15EfEEv18HadamardParamsBase, .Lfunc_end12-_Z30fast_hadamard_transform_kernelI37fast_hadamard_transform_kernel_traitsILi256ELi15EfEEv18HadamardParamsBase
                                        ; -- End function
	.section	.AMDGPU.csdata,"",@progbits
; Kernel info:
; codeLenInByte = 36580
; NumSgprs: 84
; NumVgprs: 256
; NumAgprs: 98
; TotalNumVgprs: 354
; ScratchSize: 0
; MemoryBound: 0
; FloatMode: 240
; IeeeMode: 1
; LDSByteSize: 0 bytes/workgroup (compile time only)
; SGPRBlocks: 10
; VGPRBlocks: 44
; NumSGPRsForWavesPerEU: 84
; NumVGPRsForWavesPerEU: 354
; AccumOffset: 256
; Occupancy: 1
; WaveLimiterHint : 0
; COMPUTE_PGM_RSRC2:SCRATCH_EN: 0
; COMPUTE_PGM_RSRC2:USER_SGPR: 6
; COMPUTE_PGM_RSRC2:TRAP_HANDLER: 0
; COMPUTE_PGM_RSRC2:TGID_X_EN: 1
; COMPUTE_PGM_RSRC2:TGID_Y_EN: 0
; COMPUTE_PGM_RSRC2:TGID_Z_EN: 0
; COMPUTE_PGM_RSRC2:TIDIG_COMP_CNT: 0
; COMPUTE_PGM_RSRC3_GFX90A:ACCUM_OFFSET: 63
; COMPUTE_PGM_RSRC3_GFX90A:TG_SPLIT: 0
	.section	.text._Z30fast_hadamard_transform_kernelI37fast_hadamard_transform_kernel_traitsILi1ELi3E6__halfEEv18HadamardParamsBase,"axG",@progbits,_Z30fast_hadamard_transform_kernelI37fast_hadamard_transform_kernel_traitsILi1ELi3E6__halfEEv18HadamardParamsBase,comdat
	.protected	_Z30fast_hadamard_transform_kernelI37fast_hadamard_transform_kernel_traitsILi1ELi3E6__halfEEv18HadamardParamsBase ; -- Begin function _Z30fast_hadamard_transform_kernelI37fast_hadamard_transform_kernel_traitsILi1ELi3E6__halfEEv18HadamardParamsBase
	.globl	_Z30fast_hadamard_transform_kernelI37fast_hadamard_transform_kernel_traitsILi1ELi3E6__halfEEv18HadamardParamsBase
	.p2align	8
	.type	_Z30fast_hadamard_transform_kernelI37fast_hadamard_transform_kernel_traitsILi1ELi3E6__halfEEv18HadamardParamsBase,@function
_Z30fast_hadamard_transform_kernelI37fast_hadamard_transform_kernel_traitsILi1ELi3E6__halfEEv18HadamardParamsBase: ; @_Z30fast_hadamard_transform_kernelI37fast_hadamard_transform_kernel_traitsILi1ELi3E6__halfEEv18HadamardParamsBase
; %bb.0:
	s_load_dword s0, s[4:5], 0x4
	s_waitcnt lgkmcnt(0)
	s_cmp_eq_u32 s0, 0
	s_cbranch_scc1 .LBB13_2
; %bb.1:
	s_load_dwordx8 s[8:15], s[4:5], 0x10
	s_load_dwordx2 s[0:1], s[4:5], 0x30
	s_ashr_i32 s4, s6, 31
	v_mov_b32_e32 v13, 0
	s_waitcnt lgkmcnt(0)
	s_mul_hi_u32 s2, s10, s6
	s_mul_i32 s3, s10, s4
	s_mul_i32 s5, s11, s6
	s_add_i32 s2, s2, s3
	s_add_i32 s3, s2, s5
	s_mul_i32 s2, s10, s6
	s_lshl_b64 s[2:3], s[2:3], 1
	s_add_u32 s0, s0, s2
	s_addc_u32 s1, s1, s3
	s_mul_hi_u32 s2, s8, s6
	s_mul_i32 s3, s8, s4
	s_add_i32 s2, s2, s3
	s_mul_i32 s3, s9, s6
	s_add_i32 s3, s2, s3
	s_mul_i32 s2, s8, s6
	s_lshl_b64 s[2:3], s[2:3], 1
	s_add_u32 s2, s14, s2
	s_addc_u32 s3, s15, s3
	s_load_dwordx4 s[4:7], s[2:3], 0x0
	s_waitcnt lgkmcnt(0)
	s_lshr_b32 s2, s4, 16
	v_cvt_f32_f16_e32 v0, s2
	s_lshr_b32 s2, s5, 16
	v_cvt_f32_f16_e32 v4, s2
	;; [unrolled: 2-line block ×3, first 2 shown]
	v_cvt_f32_f16_e32 v8, s2
	s_lshr_b32 s2, s7, 16
	v_cvt_f32_f16_e32 v6, s5
	v_cvt_f32_f16_e32 v10, s6
	;; [unrolled: 1-line block ×4, first 2 shown]
	v_pk_add_f32 v[18:19], v[0:1], v[2:3]
	v_pk_add_f32 v[16:17], v[4:5], v[6:7]
	v_sub_f32_e32 v19, v2, v0
	v_pk_add_f32 v[0:1], v[12:13], v[14:15]
	v_pk_add_f32 v[2:3], v[8:9], v[10:11]
	v_sub_f32_e32 v17, v6, v4
	v_sub_f32_e32 v1, v14, v12
	;; [unrolled: 1-line block ×3, first 2 shown]
	v_pk_add_f32 v[4:5], v[16:17], v[18:19]
	v_sub_f32_e32 v7, v19, v17
	v_sub_f32_e32 v6, v18, v16
	v_pk_add_f32 v[8:9], v[0:1], v[2:3]
	v_sub_f32_e32 v1, v3, v1
	v_sub_f32_e32 v0, v2, v0
	v_pk_add_f32 v[2:3], v[8:9], v[4:5]
	v_pk_add_f32 v[10:11], v[0:1], v[6:7]
	v_sub_f32_e32 v5, v5, v9
	v_sub_f32_e32 v4, v4, v8
	;; [unrolled: 1-line block ×4, first 2 shown]
	v_pk_mul_f32 v[10:11], s[12:13], v[10:11] op_sel_hi:[0,1]
	v_pk_mul_f32 v[2:3], s[12:13], v[2:3] op_sel_hi:[0,1]
	;; [unrolled: 1-line block ×4, first 2 shown]
	v_cvt_f16_f32_e32 v12, v3
	v_cvt_f16_f32_e32 v11, v11
	v_cvt_f16_f32_e32 v3, v5
	v_cvt_f16_f32_e32 v4, v4
	v_cvt_f16_f32_e32 v1, v1
	v_cvt_f16_f32_e32 v0, v0
	v_cvt_f16_f32_e32 v5, v10
	v_cvt_f16_f32_e32 v6, v2
	v_pack_b32_f16 v2, v4, v3
	v_pack_b32_f16 v3, v0, v1
	v_pack_b32_f16 v1, v5, v11
	v_pack_b32_f16 v0, v6, v12
	global_store_dwordx4 v13, v[0:3], s[0:1]
.LBB13_2:
	s_endpgm
	.section	.rodata,"a",@progbits
	.p2align	6, 0x0
	.amdhsa_kernel _Z30fast_hadamard_transform_kernelI37fast_hadamard_transform_kernel_traitsILi1ELi3E6__halfEEv18HadamardParamsBase
		.amdhsa_group_segment_fixed_size 0
		.amdhsa_private_segment_fixed_size 0
		.amdhsa_kernarg_size 56
		.amdhsa_user_sgpr_count 6
		.amdhsa_user_sgpr_private_segment_buffer 1
		.amdhsa_user_sgpr_dispatch_ptr 0
		.amdhsa_user_sgpr_queue_ptr 0
		.amdhsa_user_sgpr_kernarg_segment_ptr 1
		.amdhsa_user_sgpr_dispatch_id 0
		.amdhsa_user_sgpr_flat_scratch_init 0
		.amdhsa_user_sgpr_kernarg_preload_length 0
		.amdhsa_user_sgpr_kernarg_preload_offset 0
		.amdhsa_user_sgpr_private_segment_size 0
		.amdhsa_uses_dynamic_stack 0
		.amdhsa_system_sgpr_private_segment_wavefront_offset 0
		.amdhsa_system_sgpr_workgroup_id_x 1
		.amdhsa_system_sgpr_workgroup_id_y 0
		.amdhsa_system_sgpr_workgroup_id_z 0
		.amdhsa_system_sgpr_workgroup_info 0
		.amdhsa_system_vgpr_workitem_id 0
		.amdhsa_next_free_vgpr 20
		.amdhsa_next_free_sgpr 16
		.amdhsa_accum_offset 20
		.amdhsa_reserve_vcc 0
		.amdhsa_reserve_flat_scratch 0
		.amdhsa_float_round_mode_32 0
		.amdhsa_float_round_mode_16_64 0
		.amdhsa_float_denorm_mode_32 3
		.amdhsa_float_denorm_mode_16_64 3
		.amdhsa_dx10_clamp 1
		.amdhsa_ieee_mode 1
		.amdhsa_fp16_overflow 0
		.amdhsa_tg_split 0
		.amdhsa_exception_fp_ieee_invalid_op 0
		.amdhsa_exception_fp_denorm_src 0
		.amdhsa_exception_fp_ieee_div_zero 0
		.amdhsa_exception_fp_ieee_overflow 0
		.amdhsa_exception_fp_ieee_underflow 0
		.amdhsa_exception_fp_ieee_inexact 0
		.amdhsa_exception_int_div_zero 0
	.end_amdhsa_kernel
	.section	.text._Z30fast_hadamard_transform_kernelI37fast_hadamard_transform_kernel_traitsILi1ELi3E6__halfEEv18HadamardParamsBase,"axG",@progbits,_Z30fast_hadamard_transform_kernelI37fast_hadamard_transform_kernel_traitsILi1ELi3E6__halfEEv18HadamardParamsBase,comdat
.Lfunc_end13:
	.size	_Z30fast_hadamard_transform_kernelI37fast_hadamard_transform_kernel_traitsILi1ELi3E6__halfEEv18HadamardParamsBase, .Lfunc_end13-_Z30fast_hadamard_transform_kernelI37fast_hadamard_transform_kernel_traitsILi1ELi3E6__halfEEv18HadamardParamsBase
                                        ; -- End function
	.section	.AMDGPU.csdata,"",@progbits
; Kernel info:
; codeLenInByte = 400
; NumSgprs: 20
; NumVgprs: 20
; NumAgprs: 0
; TotalNumVgprs: 20
; ScratchSize: 0
; MemoryBound: 0
; FloatMode: 240
; IeeeMode: 1
; LDSByteSize: 0 bytes/workgroup (compile time only)
; SGPRBlocks: 2
; VGPRBlocks: 2
; NumSGPRsForWavesPerEU: 20
; NumVGPRsForWavesPerEU: 20
; AccumOffset: 20
; Occupancy: 8
; WaveLimiterHint : 0
; COMPUTE_PGM_RSRC2:SCRATCH_EN: 0
; COMPUTE_PGM_RSRC2:USER_SGPR: 6
; COMPUTE_PGM_RSRC2:TRAP_HANDLER: 0
; COMPUTE_PGM_RSRC2:TGID_X_EN: 1
; COMPUTE_PGM_RSRC2:TGID_Y_EN: 0
; COMPUTE_PGM_RSRC2:TGID_Z_EN: 0
; COMPUTE_PGM_RSRC2:TIDIG_COMP_CNT: 0
; COMPUTE_PGM_RSRC3_GFX90A:ACCUM_OFFSET: 4
; COMPUTE_PGM_RSRC3_GFX90A:TG_SPLIT: 0
	.section	.text._Z30fast_hadamard_transform_kernelI37fast_hadamard_transform_kernel_traitsILi2ELi4E6__halfEEv18HadamardParamsBase,"axG",@progbits,_Z30fast_hadamard_transform_kernelI37fast_hadamard_transform_kernel_traitsILi2ELi4E6__halfEEv18HadamardParamsBase,comdat
	.protected	_Z30fast_hadamard_transform_kernelI37fast_hadamard_transform_kernel_traitsILi2ELi4E6__halfEEv18HadamardParamsBase ; -- Begin function _Z30fast_hadamard_transform_kernelI37fast_hadamard_transform_kernel_traitsILi2ELi4E6__halfEEv18HadamardParamsBase
	.globl	_Z30fast_hadamard_transform_kernelI37fast_hadamard_transform_kernel_traitsILi2ELi4E6__halfEEv18HadamardParamsBase
	.p2align	8
	.type	_Z30fast_hadamard_transform_kernelI37fast_hadamard_transform_kernel_traitsILi2ELi4E6__halfEEv18HadamardParamsBase,@function
_Z30fast_hadamard_transform_kernelI37fast_hadamard_transform_kernel_traitsILi2ELi4E6__halfEEv18HadamardParamsBase: ; @_Z30fast_hadamard_transform_kernelI37fast_hadamard_transform_kernel_traitsILi2ELi4E6__halfEEv18HadamardParamsBase
; %bb.0:
	s_load_dword s0, s[4:5], 0x4
	v_lshlrev_b32_e32 v1, 3, v0
	v_mov_b32_e32 v2, 0
	s_ashr_i32 s2, s6, 31
	v_mov_b32_e32 v3, v2
	s_waitcnt lgkmcnt(0)
	v_cmp_gt_u32_e32 vcc, s0, v1
	v_lshlrev_b32_e32 v1, 4, v0
	v_mov_b32_e32 v4, v2
	v_mov_b32_e32 v5, v2
	;; [unrolled: 1-line block ×6, first 2 shown]
	s_and_saveexec_b64 s[0:1], vcc
	s_cbranch_execz .LBB14_2
; %bb.1:
	s_load_dwordx2 s[8:9], s[4:5], 0x10
	s_load_dwordx2 s[10:11], s[4:5], 0x28
	s_waitcnt lgkmcnt(0)
	s_mul_i32 s3, s8, s2
	s_mul_hi_u32 s7, s8, s6
	s_mul_i32 s9, s9, s6
	s_add_i32 s3, s7, s3
	s_mul_i32 s8, s8, s6
	s_add_i32 s9, s3, s9
	s_lshl_b64 s[8:9], s[8:9], 1
	s_add_u32 s8, s10, s8
	s_addc_u32 s9, s11, s9
	global_load_dwordx4 v[10:13], v1, s[8:9]
	s_waitcnt vmcnt(0)
	v_cvt_f32_f16_e32 v8, v10
	v_cvt_f32_f16_sdwa v9, v10 dst_sel:DWORD dst_unused:UNUSED_PAD src0_sel:WORD_1
	v_cvt_f32_f16_e32 v6, v11
	v_cvt_f32_f16_sdwa v7, v11 dst_sel:DWORD dst_unused:UNUSED_PAD src0_sel:WORD_1
	;; [unrolled: 2-line block ×4, first 2 shown]
.LBB14_2:
	s_or_b64 exec, exec, s[0:1]
	v_mov_b32_e32 v10, v9
	v_pk_add_f32 v[12:13], v[10:11], v[8:9] op_sel_hi:[0,1]
	v_pk_add_f32 v[8:9], v[8:9], v[10:11] op_sel_hi:[1,0] neg_lo:[0,1] neg_hi:[0,1]
	v_mov_b32_e32 v10, v7
	v_pk_add_f32 v[14:15], v[10:11], v[6:7] op_sel_hi:[0,1]
	v_pk_add_f32 v[6:7], v[6:7], v[10:11] op_sel_hi:[1,0] neg_lo:[0,1] neg_hi:[0,1]
	;; [unrolled: 3-line block ×4, first 2 shown]
	v_pk_add_f32 v[10:11], v[14:15], v[12:13]
	v_pk_add_f32 v[14:15], v[12:13], v[14:15] neg_lo:[0,1] neg_hi:[0,1]
	v_pk_add_f32 v[12:13], v[6:7], v[8:9]
	v_pk_add_f32 v[20:21], v[8:9], v[6:7] neg_lo:[0,1] neg_hi:[0,1]
	;; [unrolled: 2-line block ×4, first 2 shown]
	v_pk_add_f32 v[2:3], v[6:7], v[10:11]
	v_mbcnt_lo_u32_b32 v3, -1, 0
	v_pk_add_f32 v[8:9], v[10:11], v[6:7] neg_lo:[0,1] neg_hi:[0,1]
	v_pk_add_f32 v[6:7], v[16:17], v[14:15]
	v_mbcnt_hi_u32_b32 v3, -1, v3
	v_pk_add_f32 v[4:5], v[18:19], v[12:13]
	v_and_b32_e32 v7, 64, v3
	v_xor_b32_e32 v5, 1, v3
	v_add_u32_e32 v7, 64, v7
	v_cmp_lt_i32_e64 s[0:1], v5, v7
	v_pk_add_f32 v[14:15], v[14:15], v[16:17] neg_lo:[0,1] neg_hi:[0,1]
	v_pk_add_f32 v[16:17], v[20:21], v[22:23] neg_lo:[0,1] neg_hi:[0,1]
	v_cndmask_b32_e64 v3, v3, v5, s[0:1]
	v_pk_add_f32 v[12:13], v[12:13], v[18:19] neg_lo:[0,1] neg_hi:[0,1]
	v_pk_add_f32 v[10:11], v[22:23], v[20:21]
	v_lshlrev_b32_e32 v17, 2, v3
	ds_bpermute_b32 v3, v17, v2
	ds_bpermute_b32 v5, v17, v4
	;; [unrolled: 1-line block ×8, first 2 shown]
	s_and_saveexec_b64 s[0:1], vcc
	s_cbranch_execz .LBB14_4
; %bb.3:
	s_load_dwordx2 s[0:1], s[4:5], 0x18
	s_load_dwordx2 s[8:9], s[4:5], 0x30
	s_load_dword s3, s[4:5], 0x20
	v_cmp_eq_u32_e32 vcc, 0, v0
	v_cndmask_b32_e64 v14, -v14, v14, vcc
	s_waitcnt lgkmcnt(0)
	s_mul_i32 s2, s0, s2
	s_mul_hi_u32 s4, s0, s6
	s_mul_i32 s1, s1, s6
	s_add_i32 s2, s4, s2
	s_add_i32 s1, s2, s1
	s_mul_i32 s0, s0, s6
	v_cndmask_b32_e64 v8, -v8, v8, vcc
	v_cndmask_b32_e64 v6, -v6, v6, vcc
	;; [unrolled: 1-line block ×3, first 2 shown]
	s_lshl_b64 s[0:1], s[0:1], 1
	v_cndmask_b32_e64 v0, -v16, v16, vcc
	v_add_f32_e32 v14, v14, v15
	v_cndmask_b32_e64 v12, -v12, v12, vcc
	v_add_f32_e32 v8, v8, v11
	v_cndmask_b32_e64 v10, -v10, v10, vcc
	v_add_f32_e32 v6, v6, v7
	v_cndmask_b32_e64 v4, -v4, v4, vcc
	v_add_f32_e32 v2, v2, v3
	s_add_u32 s0, s8, s0
	v_add_f32_e32 v0, v0, v17
	v_add_f32_e32 v12, v12, v13
	v_add_f32_e32 v9, v10, v9
	v_add_f32_e32 v7, v4, v5
	v_fma_mixlo_f16 v5, s3, v14, 0
	v_fma_mixlo_f16 v4, s3, v8, 0
	;; [unrolled: 1-line block ×4, first 2 shown]
	s_addc_u32 s1, s9, s1
	v_fma_mixhi_f16 v5, s3, v0, 0
	v_fma_mixhi_f16 v4, s3, v12, 0
	;; [unrolled: 1-line block ×4, first 2 shown]
	global_store_dwordx4 v1, v[2:5], s[0:1]
.LBB14_4:
	s_endpgm
	.section	.rodata,"a",@progbits
	.p2align	6, 0x0
	.amdhsa_kernel _Z30fast_hadamard_transform_kernelI37fast_hadamard_transform_kernel_traitsILi2ELi4E6__halfEEv18HadamardParamsBase
		.amdhsa_group_segment_fixed_size 0
		.amdhsa_private_segment_fixed_size 0
		.amdhsa_kernarg_size 56
		.amdhsa_user_sgpr_count 6
		.amdhsa_user_sgpr_private_segment_buffer 1
		.amdhsa_user_sgpr_dispatch_ptr 0
		.amdhsa_user_sgpr_queue_ptr 0
		.amdhsa_user_sgpr_kernarg_segment_ptr 1
		.amdhsa_user_sgpr_dispatch_id 0
		.amdhsa_user_sgpr_flat_scratch_init 0
		.amdhsa_user_sgpr_kernarg_preload_length 0
		.amdhsa_user_sgpr_kernarg_preload_offset 0
		.amdhsa_user_sgpr_private_segment_size 0
		.amdhsa_uses_dynamic_stack 0
		.amdhsa_system_sgpr_private_segment_wavefront_offset 0
		.amdhsa_system_sgpr_workgroup_id_x 1
		.amdhsa_system_sgpr_workgroup_id_y 0
		.amdhsa_system_sgpr_workgroup_id_z 0
		.amdhsa_system_sgpr_workgroup_info 0
		.amdhsa_system_vgpr_workitem_id 0
		.amdhsa_next_free_vgpr 24
		.amdhsa_next_free_sgpr 12
		.amdhsa_accum_offset 24
		.amdhsa_reserve_vcc 1
		.amdhsa_reserve_flat_scratch 0
		.amdhsa_float_round_mode_32 0
		.amdhsa_float_round_mode_16_64 0
		.amdhsa_float_denorm_mode_32 3
		.amdhsa_float_denorm_mode_16_64 3
		.amdhsa_dx10_clamp 1
		.amdhsa_ieee_mode 1
		.amdhsa_fp16_overflow 0
		.amdhsa_tg_split 0
		.amdhsa_exception_fp_ieee_invalid_op 0
		.amdhsa_exception_fp_denorm_src 0
		.amdhsa_exception_fp_ieee_div_zero 0
		.amdhsa_exception_fp_ieee_overflow 0
		.amdhsa_exception_fp_ieee_underflow 0
		.amdhsa_exception_fp_ieee_inexact 0
		.amdhsa_exception_int_div_zero 0
	.end_amdhsa_kernel
	.section	.text._Z30fast_hadamard_transform_kernelI37fast_hadamard_transform_kernel_traitsILi2ELi4E6__halfEEv18HadamardParamsBase,"axG",@progbits,_Z30fast_hadamard_transform_kernelI37fast_hadamard_transform_kernel_traitsILi2ELi4E6__halfEEv18HadamardParamsBase,comdat
.Lfunc_end14:
	.size	_Z30fast_hadamard_transform_kernelI37fast_hadamard_transform_kernel_traitsILi2ELi4E6__halfEEv18HadamardParamsBase, .Lfunc_end14-_Z30fast_hadamard_transform_kernelI37fast_hadamard_transform_kernel_traitsILi2ELi4E6__halfEEv18HadamardParamsBase
                                        ; -- End function
	.section	.AMDGPU.csdata,"",@progbits
; Kernel info:
; codeLenInByte = 756
; NumSgprs: 16
; NumVgprs: 24
; NumAgprs: 0
; TotalNumVgprs: 24
; ScratchSize: 0
; MemoryBound: 0
; FloatMode: 240
; IeeeMode: 1
; LDSByteSize: 0 bytes/workgroup (compile time only)
; SGPRBlocks: 1
; VGPRBlocks: 2
; NumSGPRsForWavesPerEU: 16
; NumVGPRsForWavesPerEU: 24
; AccumOffset: 24
; Occupancy: 8
; WaveLimiterHint : 0
; COMPUTE_PGM_RSRC2:SCRATCH_EN: 0
; COMPUTE_PGM_RSRC2:USER_SGPR: 6
; COMPUTE_PGM_RSRC2:TRAP_HANDLER: 0
; COMPUTE_PGM_RSRC2:TGID_X_EN: 1
; COMPUTE_PGM_RSRC2:TGID_Y_EN: 0
; COMPUTE_PGM_RSRC2:TGID_Z_EN: 0
; COMPUTE_PGM_RSRC2:TIDIG_COMP_CNT: 0
; COMPUTE_PGM_RSRC3_GFX90A:ACCUM_OFFSET: 5
; COMPUTE_PGM_RSRC3_GFX90A:TG_SPLIT: 0
	.section	.text._Z30fast_hadamard_transform_kernelI37fast_hadamard_transform_kernel_traitsILi4ELi5E6__halfEEv18HadamardParamsBase,"axG",@progbits,_Z30fast_hadamard_transform_kernelI37fast_hadamard_transform_kernel_traitsILi4ELi5E6__halfEEv18HadamardParamsBase,comdat
	.protected	_Z30fast_hadamard_transform_kernelI37fast_hadamard_transform_kernel_traitsILi4ELi5E6__halfEEv18HadamardParamsBase ; -- Begin function _Z30fast_hadamard_transform_kernelI37fast_hadamard_transform_kernel_traitsILi4ELi5E6__halfEEv18HadamardParamsBase
	.globl	_Z30fast_hadamard_transform_kernelI37fast_hadamard_transform_kernel_traitsILi4ELi5E6__halfEEv18HadamardParamsBase
	.p2align	8
	.type	_Z30fast_hadamard_transform_kernelI37fast_hadamard_transform_kernel_traitsILi4ELi5E6__halfEEv18HadamardParamsBase,@function
_Z30fast_hadamard_transform_kernelI37fast_hadamard_transform_kernel_traitsILi4ELi5E6__halfEEv18HadamardParamsBase: ; @_Z30fast_hadamard_transform_kernelI37fast_hadamard_transform_kernel_traitsILi4ELi5E6__halfEEv18HadamardParamsBase
; %bb.0:
	s_load_dword s0, s[4:5], 0x4
	v_lshlrev_b32_e32 v1, 3, v0
	v_mov_b32_e32 v3, 0
	s_ashr_i32 s2, s6, 31
	v_mov_b32_e32 v7, 0
	s_waitcnt lgkmcnt(0)
	v_cmp_gt_u32_e32 vcc, s0, v1
	v_lshlrev_b32_e32 v1, 4, v0
	v_mov_b32_e32 v5, 0
	v_mov_b32_e32 v9, 0
	;; [unrolled: 1-line block ×6, first 2 shown]
	s_and_saveexec_b64 s[0:1], vcc
	s_cbranch_execz .LBB15_2
; %bb.1:
	s_load_dwordx2 s[8:9], s[4:5], 0x10
	s_load_dwordx2 s[10:11], s[4:5], 0x28
	s_waitcnt lgkmcnt(0)
	s_mul_i32 s3, s8, s2
	s_mul_hi_u32 s7, s8, s6
	s_mul_i32 s9, s9, s6
	s_add_i32 s3, s7, s3
	s_mul_i32 s8, s8, s6
	s_add_i32 s9, s3, s9
	s_lshl_b64 s[8:9], s[8:9], 1
	s_add_u32 s8, s10, s8
	s_addc_u32 s9, s11, s9
	global_load_dwordx4 v[8:11], v1, s[8:9]
	s_waitcnt vmcnt(0)
	v_cvt_f32_f16_e32 v4, v8
	v_cvt_f32_f16_sdwa v8, v8 dst_sel:DWORD dst_unused:UNUSED_PAD src0_sel:WORD_1
	v_cvt_f32_f16_e32 v2, v9
	v_cvt_f32_f16_sdwa v6, v9 dst_sel:DWORD dst_unused:UNUSED_PAD src0_sel:WORD_1
	;; [unrolled: 2-line block ×4, first 2 shown]
.LBB15_2:
	s_or_b64 exec, exec, s[0:1]
	v_pk_add_f32 v[10:11], v[8:9], v[4:5]
	v_pk_add_f32 v[12:13], v[6:7], v[2:3]
	v_pk_add_f32 v[4:5], v[4:5], v[8:9] neg_lo:[0,1] neg_hi:[0,1]
	v_pk_add_f32 v[2:3], v[2:3], v[6:7] neg_lo:[0,1] neg_hi:[0,1]
	v_pk_add_f32 v[14:15], v[12:13], v[10:11]
	v_pk_add_f32 v[6:7], v[2:3], v[4:5]
	v_pk_add_f32 v[10:11], v[10:11], v[12:13] neg_lo:[0,1] neg_hi:[0,1]
	v_pk_add_f32 v[2:3], v[4:5], v[2:3] neg_lo:[0,1] neg_hi:[0,1]
	v_mov_b32_e32 v4, v15
	v_mov_b32_e32 v12, v7
	v_pk_add_f32 v[8:9], v[4:5], v[14:15]
	v_pk_add_f32 v[4:5], v[14:15], v[4:5] neg_lo:[0,1] neg_hi:[0,1]
	v_pk_add_f32 v[14:15], v[12:13], v[6:7]
	v_pk_add_f32 v[6:7], v[6:7], v[12:13] neg_lo:[0,1] neg_hi:[0,1]
	v_mov_b32_e32 v12, v11
	v_pk_add_f32 v[16:17], v[12:13], v[10:11]
	v_pk_add_f32 v[10:11], v[10:11], v[12:13] neg_lo:[0,1] neg_hi:[0,1]
	v_mov_b32_e32 v12, v3
	v_pk_add_f32 v[18:19], v[12:13], v[2:3]
	v_pk_add_f32 v[2:3], v[2:3], v[12:13] neg_lo:[0,1] neg_hi:[0,1]
	v_mbcnt_lo_u32_b32 v3, -1, 0
	v_mbcnt_hi_u32_b32 v17, -1, v3
	v_and_b32_e32 v3, 64, v17
	v_add_u32_e32 v19, 64, v3
	v_xor_b32_e32 v5, 1, v17
	v_cmp_lt_i32_e64 s[0:1], v5, v19
	v_cndmask_b32_e64 v5, v17, v5, s[0:1]
	v_lshlrev_b32_e32 v5, 2, v5
	ds_bpermute_b32 v22, v5, v4
	ds_bpermute_b32 v23, v5, v6
	v_and_b32_e32 v3, 1, v0
	ds_bpermute_b32 v12, v5, v8
	ds_bpermute_b32 v13, v5, v14
	;; [unrolled: 1-line block ×6, first 2 shown]
	v_cmp_eq_u32_e64 s[0:1], 0, v3
	v_cndmask_b32_e64 v5, -v6, v6, s[0:1]
	v_cndmask_b32_e64 v4, -v4, v4, s[0:1]
	s_waitcnt lgkmcnt(6)
	v_pk_add_f32 v[6:7], v[4:5], v[22:23]
	v_xor_b32_e32 v4, 2, v17
	v_cndmask_b32_e64 v9, -v14, v14, s[0:1]
	v_cndmask_b32_e64 v8, -v8, v8, s[0:1]
	v_cndmask_b32_e64 v15, -v18, v18, s[0:1]
	v_cndmask_b32_e64 v14, -v16, v16, s[0:1]
	v_cndmask_b32_e64 v3, -v2, v2, s[0:1]
	v_cndmask_b32_e64 v2, -v10, v10, s[0:1]
	v_cmp_lt_i32_e64 s[0:1], v4, v19
	v_cndmask_b32_e64 v4, v17, v4, s[0:1]
	s_waitcnt lgkmcnt(0)
	v_pk_add_f32 v[2:3], v[2:3], v[24:25]
	v_pk_add_f32 v[10:11], v[14:15], v[20:21]
	;; [unrolled: 1-line block ×3, first 2 shown]
	v_lshlrev_b32_e32 v17, 2, v4
	ds_bpermute_b32 v4, v17, v14
	ds_bpermute_b32 v5, v17, v15
	;; [unrolled: 1-line block ×8, first 2 shown]
	s_and_saveexec_b64 s[0:1], vcc
	s_cbranch_execz .LBB15_4
; %bb.3:
	s_load_dwordx2 s[0:1], s[4:5], 0x18
	s_load_dwordx2 s[8:9], s[4:5], 0x30
	s_load_dword s10, s[4:5], 0x20
	v_and_b32_e32 v0, 2, v0
	v_cmp_eq_u32_e32 vcc, 0, v0
	v_cndmask_b32_e64 v15, -v15, v15, vcc
	v_cndmask_b32_e64 v14, -v14, v14, vcc
	v_cndmask_b32_e64 v11, -v11, v11, vcc
	v_cndmask_b32_e64 v10, -v10, v10, vcc
	v_cndmask_b32_e64 v7, -v7, v7, vcc
	v_cndmask_b32_e64 v6, -v6, v6, vcc
	v_cndmask_b32_e64 v3, -v3, v3, vcc
	v_cndmask_b32_e64 v2, -v2, v2, vcc
	s_waitcnt lgkmcnt(0)
	v_pk_add_f32 v[2:3], v[2:3], v[16:17]
	v_pk_add_f32 v[6:7], v[6:7], v[12:13]
	;; [unrolled: 1-line block ×4, first 2 shown]
	s_mul_i32 s2, s0, s2
	s_mul_hi_u32 s3, s0, s6
	v_pk_mul_f32 v[4:5], s[10:11], v[4:5] op_sel_hi:[0,1]
	v_pk_mul_f32 v[8:9], s[10:11], v[8:9] op_sel_hi:[0,1]
	;; [unrolled: 1-line block ×4, first 2 shown]
	s_mul_i32 s1, s1, s6
	s_add_i32 s2, s3, s2
	v_cvt_f16_f32_e32 v0, v3
	v_cvt_f16_f32_e32 v2, v2
	;; [unrolled: 1-line block ×8, first 2 shown]
	s_add_i32 s1, s2, s1
	s_mul_i32 s0, s0, s6
	s_lshl_b64 s[0:1], s[0:1], 1
	s_add_u32 s0, s8, s0
	s_addc_u32 s1, s9, s1
	v_pack_b32_f16 v5, v2, v0
	v_pack_b32_f16 v4, v6, v3
	;; [unrolled: 1-line block ×4, first 2 shown]
	global_store_dwordx4 v1, v[2:5], s[0:1]
.LBB15_4:
	s_endpgm
	.section	.rodata,"a",@progbits
	.p2align	6, 0x0
	.amdhsa_kernel _Z30fast_hadamard_transform_kernelI37fast_hadamard_transform_kernel_traitsILi4ELi5E6__halfEEv18HadamardParamsBase
		.amdhsa_group_segment_fixed_size 0
		.amdhsa_private_segment_fixed_size 0
		.amdhsa_kernarg_size 56
		.amdhsa_user_sgpr_count 6
		.amdhsa_user_sgpr_private_segment_buffer 1
		.amdhsa_user_sgpr_dispatch_ptr 0
		.amdhsa_user_sgpr_queue_ptr 0
		.amdhsa_user_sgpr_kernarg_segment_ptr 1
		.amdhsa_user_sgpr_dispatch_id 0
		.amdhsa_user_sgpr_flat_scratch_init 0
		.amdhsa_user_sgpr_kernarg_preload_length 0
		.amdhsa_user_sgpr_kernarg_preload_offset 0
		.amdhsa_user_sgpr_private_segment_size 0
		.amdhsa_uses_dynamic_stack 0
		.amdhsa_system_sgpr_private_segment_wavefront_offset 0
		.amdhsa_system_sgpr_workgroup_id_x 1
		.amdhsa_system_sgpr_workgroup_id_y 0
		.amdhsa_system_sgpr_workgroup_id_z 0
		.amdhsa_system_sgpr_workgroup_info 0
		.amdhsa_system_vgpr_workitem_id 0
		.amdhsa_next_free_vgpr 26
		.amdhsa_next_free_sgpr 12
		.amdhsa_accum_offset 28
		.amdhsa_reserve_vcc 1
		.amdhsa_reserve_flat_scratch 0
		.amdhsa_float_round_mode_32 0
		.amdhsa_float_round_mode_16_64 0
		.amdhsa_float_denorm_mode_32 3
		.amdhsa_float_denorm_mode_16_64 3
		.amdhsa_dx10_clamp 1
		.amdhsa_ieee_mode 1
		.amdhsa_fp16_overflow 0
		.amdhsa_tg_split 0
		.amdhsa_exception_fp_ieee_invalid_op 0
		.amdhsa_exception_fp_denorm_src 0
		.amdhsa_exception_fp_ieee_div_zero 0
		.amdhsa_exception_fp_ieee_overflow 0
		.amdhsa_exception_fp_ieee_underflow 0
		.amdhsa_exception_fp_ieee_inexact 0
		.amdhsa_exception_int_div_zero 0
	.end_amdhsa_kernel
	.section	.text._Z30fast_hadamard_transform_kernelI37fast_hadamard_transform_kernel_traitsILi4ELi5E6__halfEEv18HadamardParamsBase,"axG",@progbits,_Z30fast_hadamard_transform_kernelI37fast_hadamard_transform_kernel_traitsILi4ELi5E6__halfEEv18HadamardParamsBase,comdat
.Lfunc_end15:
	.size	_Z30fast_hadamard_transform_kernelI37fast_hadamard_transform_kernel_traitsILi4ELi5E6__halfEEv18HadamardParamsBase, .Lfunc_end15-_Z30fast_hadamard_transform_kernelI37fast_hadamard_transform_kernel_traitsILi4ELi5E6__halfEEv18HadamardParamsBase
                                        ; -- End function
	.section	.AMDGPU.csdata,"",@progbits
; Kernel info:
; codeLenInByte = 932
; NumSgprs: 16
; NumVgprs: 26
; NumAgprs: 0
; TotalNumVgprs: 26
; ScratchSize: 0
; MemoryBound: 0
; FloatMode: 240
; IeeeMode: 1
; LDSByteSize: 0 bytes/workgroup (compile time only)
; SGPRBlocks: 1
; VGPRBlocks: 3
; NumSGPRsForWavesPerEU: 16
; NumVGPRsForWavesPerEU: 26
; AccumOffset: 28
; Occupancy: 8
; WaveLimiterHint : 0
; COMPUTE_PGM_RSRC2:SCRATCH_EN: 0
; COMPUTE_PGM_RSRC2:USER_SGPR: 6
; COMPUTE_PGM_RSRC2:TRAP_HANDLER: 0
; COMPUTE_PGM_RSRC2:TGID_X_EN: 1
; COMPUTE_PGM_RSRC2:TGID_Y_EN: 0
; COMPUTE_PGM_RSRC2:TGID_Z_EN: 0
; COMPUTE_PGM_RSRC2:TIDIG_COMP_CNT: 0
; COMPUTE_PGM_RSRC3_GFX90A:ACCUM_OFFSET: 6
; COMPUTE_PGM_RSRC3_GFX90A:TG_SPLIT: 0
	.section	.text._Z30fast_hadamard_transform_kernelI37fast_hadamard_transform_kernel_traitsILi8ELi6E6__halfEEv18HadamardParamsBase,"axG",@progbits,_Z30fast_hadamard_transform_kernelI37fast_hadamard_transform_kernel_traitsILi8ELi6E6__halfEEv18HadamardParamsBase,comdat
	.protected	_Z30fast_hadamard_transform_kernelI37fast_hadamard_transform_kernel_traitsILi8ELi6E6__halfEEv18HadamardParamsBase ; -- Begin function _Z30fast_hadamard_transform_kernelI37fast_hadamard_transform_kernel_traitsILi8ELi6E6__halfEEv18HadamardParamsBase
	.globl	_Z30fast_hadamard_transform_kernelI37fast_hadamard_transform_kernel_traitsILi8ELi6E6__halfEEv18HadamardParamsBase
	.p2align	8
	.type	_Z30fast_hadamard_transform_kernelI37fast_hadamard_transform_kernel_traitsILi8ELi6E6__halfEEv18HadamardParamsBase,@function
_Z30fast_hadamard_transform_kernelI37fast_hadamard_transform_kernel_traitsILi8ELi6E6__halfEEv18HadamardParamsBase: ; @_Z30fast_hadamard_transform_kernelI37fast_hadamard_transform_kernel_traitsILi8ELi6E6__halfEEv18HadamardParamsBase
; %bb.0:
	s_load_dword s0, s[4:5], 0x4
	v_lshlrev_b32_e32 v1, 3, v0
	v_mov_b32_e32 v3, 0
	s_ashr_i32 s2, s6, 31
	v_mov_b32_e32 v7, 0
	s_waitcnt lgkmcnt(0)
	v_cmp_gt_u32_e32 vcc, s0, v1
	v_lshlrev_b32_e32 v1, 4, v0
	v_mov_b32_e32 v5, 0
	v_mov_b32_e32 v9, 0
	;; [unrolled: 1-line block ×6, first 2 shown]
	s_and_saveexec_b64 s[0:1], vcc
	s_cbranch_execz .LBB16_2
; %bb.1:
	s_load_dwordx2 s[8:9], s[4:5], 0x10
	s_load_dwordx2 s[10:11], s[4:5], 0x28
	s_waitcnt lgkmcnt(0)
	s_mul_i32 s3, s8, s2
	s_mul_hi_u32 s7, s8, s6
	s_mul_i32 s9, s9, s6
	s_add_i32 s3, s7, s3
	s_mul_i32 s8, s8, s6
	s_add_i32 s9, s3, s9
	s_lshl_b64 s[8:9], s[8:9], 1
	s_add_u32 s8, s10, s8
	s_addc_u32 s9, s11, s9
	global_load_dwordx4 v[8:11], v1, s[8:9]
	s_waitcnt vmcnt(0)
	v_cvt_f32_f16_e32 v4, v8
	v_cvt_f32_f16_sdwa v8, v8 dst_sel:DWORD dst_unused:UNUSED_PAD src0_sel:WORD_1
	v_cvt_f32_f16_e32 v2, v9
	v_cvt_f32_f16_sdwa v6, v9 dst_sel:DWORD dst_unused:UNUSED_PAD src0_sel:WORD_1
	v_cvt_f32_f16_e32 v5, v10
	v_cvt_f32_f16_sdwa v9, v10 dst_sel:DWORD dst_unused:UNUSED_PAD src0_sel:WORD_1
	v_cvt_f32_f16_e32 v3, v11
	v_cvt_f32_f16_sdwa v7, v11 dst_sel:DWORD dst_unused:UNUSED_PAD src0_sel:WORD_1
.LBB16_2:
	s_or_b64 exec, exec, s[0:1]
	v_pk_add_f32 v[10:11], v[8:9], v[4:5]
	v_pk_add_f32 v[12:13], v[6:7], v[2:3]
	v_pk_add_f32 v[4:5], v[4:5], v[8:9] neg_lo:[0,1] neg_hi:[0,1]
	v_pk_add_f32 v[2:3], v[2:3], v[6:7] neg_lo:[0,1] neg_hi:[0,1]
	v_pk_add_f32 v[14:15], v[12:13], v[10:11]
	v_pk_add_f32 v[6:7], v[2:3], v[4:5]
	v_pk_add_f32 v[10:11], v[10:11], v[12:13] neg_lo:[0,1] neg_hi:[0,1]
	v_pk_add_f32 v[2:3], v[4:5], v[2:3] neg_lo:[0,1] neg_hi:[0,1]
	v_mov_b32_e32 v4, v15
	v_mov_b32_e32 v12, v7
	v_pk_add_f32 v[8:9], v[4:5], v[14:15]
	v_pk_add_f32 v[4:5], v[14:15], v[4:5] neg_lo:[0,1] neg_hi:[0,1]
	v_pk_add_f32 v[14:15], v[12:13], v[6:7]
	v_pk_add_f32 v[6:7], v[6:7], v[12:13] neg_lo:[0,1] neg_hi:[0,1]
	v_mov_b32_e32 v12, v11
	v_pk_add_f32 v[16:17], v[12:13], v[10:11]
	v_pk_add_f32 v[10:11], v[10:11], v[12:13] neg_lo:[0,1] neg_hi:[0,1]
	v_mov_b32_e32 v12, v3
	v_pk_add_f32 v[18:19], v[12:13], v[2:3]
	v_pk_add_f32 v[2:3], v[2:3], v[12:13] neg_lo:[0,1] neg_hi:[0,1]
	v_mbcnt_lo_u32_b32 v3, -1, 0
	v_mbcnt_hi_u32_b32 v26, -1, v3
	v_and_b32_e32 v3, 64, v26
	v_add_u32_e32 v27, 64, v3
	v_xor_b32_e32 v5, 1, v26
	v_cmp_lt_i32_e64 s[0:1], v5, v27
	v_cndmask_b32_e64 v5, v26, v5, s[0:1]
	v_lshlrev_b32_e32 v5, 2, v5
	ds_bpermute_b32 v22, v5, v4
	ds_bpermute_b32 v23, v5, v6
	;; [unrolled: 1-line block ×8, first 2 shown]
	v_xor_b32_e32 v5, 2, v26
	v_and_b32_e32 v3, 1, v0
	v_cmp_lt_i32_e64 s[0:1], v5, v27
	v_cndmask_b32_e64 v5, v26, v5, s[0:1]
	v_cmp_eq_u32_e64 s[0:1], 0, v3
	v_lshlrev_b32_e32 v17, 2, v5
	v_cndmask_b32_e64 v5, -v6, v6, s[0:1]
	v_cndmask_b32_e64 v4, -v4, v4, s[0:1]
	;; [unrolled: 1-line block ×5, first 2 shown]
	s_waitcnt lgkmcnt(6)
	v_pk_add_f32 v[4:5], v[4:5], v[22:23]
	s_waitcnt lgkmcnt(2)
	v_pk_add_f32 v[6:7], v[14:15], v[20:21]
	ds_bpermute_b32 v14, v17, v4
	ds_bpermute_b32 v15, v17, v5
	v_cndmask_b32_e64 v8, -v8, v8, s[0:1]
	v_cndmask_b32_e64 v3, -v2, v2, s[0:1]
	;; [unrolled: 1-line block ×3, first 2 shown]
	v_and_b32_e32 v19, 2, v0
	s_waitcnt lgkmcnt(2)
	v_pk_add_f32 v[2:3], v[2:3], v[24:25]
	v_pk_add_f32 v[8:9], v[8:9], v[12:13]
	ds_bpermute_b32 v12, v17, v8
	ds_bpermute_b32 v13, v17, v9
	;; [unrolled: 1-line block ×6, first 2 shown]
	v_cmp_eq_u32_e64 s[0:1], 0, v19
	v_cndmask_b32_e64 v5, -v5, v5, s[0:1]
	v_cndmask_b32_e64 v4, -v4, v4, s[0:1]
	;; [unrolled: 1-line block ×4, first 2 shown]
	s_waitcnt lgkmcnt(6)
	v_pk_add_f32 v[6:7], v[4:5], v[14:15]
	v_xor_b32_e32 v4, 4, v26
	v_cndmask_b32_e64 v9, -v9, v9, s[0:1]
	v_cndmask_b32_e64 v8, -v8, v8, s[0:1]
	;; [unrolled: 1-line block ×4, first 2 shown]
	v_cmp_lt_i32_e64 s[0:1], v4, v27
	v_cndmask_b32_e64 v4, v26, v4, s[0:1]
	s_waitcnt lgkmcnt(0)
	v_pk_add_f32 v[2:3], v[2:3], v[16:17]
	v_pk_add_f32 v[10:11], v[18:19], v[10:11]
	;; [unrolled: 1-line block ×3, first 2 shown]
	v_lshlrev_b32_e32 v17, 2, v4
	ds_bpermute_b32 v4, v17, v14
	ds_bpermute_b32 v5, v17, v15
	;; [unrolled: 1-line block ×8, first 2 shown]
	s_and_saveexec_b64 s[0:1], vcc
	s_cbranch_execz .LBB16_4
; %bb.3:
	s_load_dwordx2 s[0:1], s[4:5], 0x18
	s_load_dwordx2 s[8:9], s[4:5], 0x30
	s_load_dword s10, s[4:5], 0x20
	v_and_b32_e32 v0, 4, v0
	v_cmp_eq_u32_e32 vcc, 0, v0
	v_cndmask_b32_e64 v15, -v15, v15, vcc
	v_cndmask_b32_e64 v14, -v14, v14, vcc
	v_cndmask_b32_e64 v11, -v11, v11, vcc
	v_cndmask_b32_e64 v10, -v10, v10, vcc
	v_cndmask_b32_e64 v7, -v7, v7, vcc
	v_cndmask_b32_e64 v6, -v6, v6, vcc
	v_cndmask_b32_e64 v3, -v3, v3, vcc
	v_cndmask_b32_e64 v2, -v2, v2, vcc
	s_waitcnt lgkmcnt(0)
	v_pk_add_f32 v[2:3], v[2:3], v[16:17]
	v_pk_add_f32 v[6:7], v[6:7], v[12:13]
	;; [unrolled: 1-line block ×4, first 2 shown]
	s_mul_i32 s2, s0, s2
	s_mul_hi_u32 s3, s0, s6
	v_pk_mul_f32 v[4:5], s[10:11], v[4:5] op_sel_hi:[0,1]
	v_pk_mul_f32 v[8:9], s[10:11], v[8:9] op_sel_hi:[0,1]
	;; [unrolled: 1-line block ×4, first 2 shown]
	s_mul_i32 s1, s1, s6
	s_add_i32 s2, s3, s2
	v_cvt_f16_f32_e32 v0, v3
	v_cvt_f16_f32_e32 v2, v2
	;; [unrolled: 1-line block ×8, first 2 shown]
	s_add_i32 s1, s2, s1
	s_mul_i32 s0, s0, s6
	s_lshl_b64 s[0:1], s[0:1], 1
	s_add_u32 s0, s8, s0
	s_addc_u32 s1, s9, s1
	v_pack_b32_f16 v5, v2, v0
	v_pack_b32_f16 v4, v6, v3
	;; [unrolled: 1-line block ×4, first 2 shown]
	global_store_dwordx4 v1, v[2:5], s[0:1]
.LBB16_4:
	s_endpgm
	.section	.rodata,"a",@progbits
	.p2align	6, 0x0
	.amdhsa_kernel _Z30fast_hadamard_transform_kernelI37fast_hadamard_transform_kernel_traitsILi8ELi6E6__halfEEv18HadamardParamsBase
		.amdhsa_group_segment_fixed_size 0
		.amdhsa_private_segment_fixed_size 0
		.amdhsa_kernarg_size 56
		.amdhsa_user_sgpr_count 6
		.amdhsa_user_sgpr_private_segment_buffer 1
		.amdhsa_user_sgpr_dispatch_ptr 0
		.amdhsa_user_sgpr_queue_ptr 0
		.amdhsa_user_sgpr_kernarg_segment_ptr 1
		.amdhsa_user_sgpr_dispatch_id 0
		.amdhsa_user_sgpr_flat_scratch_init 0
		.amdhsa_user_sgpr_kernarg_preload_length 0
		.amdhsa_user_sgpr_kernarg_preload_offset 0
		.amdhsa_user_sgpr_private_segment_size 0
		.amdhsa_uses_dynamic_stack 0
		.amdhsa_system_sgpr_private_segment_wavefront_offset 0
		.amdhsa_system_sgpr_workgroup_id_x 1
		.amdhsa_system_sgpr_workgroup_id_y 0
		.amdhsa_system_sgpr_workgroup_id_z 0
		.amdhsa_system_sgpr_workgroup_info 0
		.amdhsa_system_vgpr_workitem_id 0
		.amdhsa_next_free_vgpr 28
		.amdhsa_next_free_sgpr 12
		.amdhsa_accum_offset 28
		.amdhsa_reserve_vcc 1
		.amdhsa_reserve_flat_scratch 0
		.amdhsa_float_round_mode_32 0
		.amdhsa_float_round_mode_16_64 0
		.amdhsa_float_denorm_mode_32 3
		.amdhsa_float_denorm_mode_16_64 3
		.amdhsa_dx10_clamp 1
		.amdhsa_ieee_mode 1
		.amdhsa_fp16_overflow 0
		.amdhsa_tg_split 0
		.amdhsa_exception_fp_ieee_invalid_op 0
		.amdhsa_exception_fp_denorm_src 0
		.amdhsa_exception_fp_ieee_div_zero 0
		.amdhsa_exception_fp_ieee_overflow 0
		.amdhsa_exception_fp_ieee_underflow 0
		.amdhsa_exception_fp_ieee_inexact 0
		.amdhsa_exception_int_div_zero 0
	.end_amdhsa_kernel
	.section	.text._Z30fast_hadamard_transform_kernelI37fast_hadamard_transform_kernel_traitsILi8ELi6E6__halfEEv18HadamardParamsBase,"axG",@progbits,_Z30fast_hadamard_transform_kernelI37fast_hadamard_transform_kernel_traitsILi8ELi6E6__halfEEv18HadamardParamsBase,comdat
.Lfunc_end16:
	.size	_Z30fast_hadamard_transform_kernelI37fast_hadamard_transform_kernel_traitsILi8ELi6E6__halfEEv18HadamardParamsBase, .Lfunc_end16-_Z30fast_hadamard_transform_kernelI37fast_hadamard_transform_kernel_traitsILi8ELi6E6__halfEEv18HadamardParamsBase
                                        ; -- End function
	.section	.AMDGPU.csdata,"",@progbits
; Kernel info:
; codeLenInByte = 1140
; NumSgprs: 16
; NumVgprs: 28
; NumAgprs: 0
; TotalNumVgprs: 28
; ScratchSize: 0
; MemoryBound: 0
; FloatMode: 240
; IeeeMode: 1
; LDSByteSize: 0 bytes/workgroup (compile time only)
; SGPRBlocks: 1
; VGPRBlocks: 3
; NumSGPRsForWavesPerEU: 16
; NumVGPRsForWavesPerEU: 28
; AccumOffset: 28
; Occupancy: 8
; WaveLimiterHint : 0
; COMPUTE_PGM_RSRC2:SCRATCH_EN: 0
; COMPUTE_PGM_RSRC2:USER_SGPR: 6
; COMPUTE_PGM_RSRC2:TRAP_HANDLER: 0
; COMPUTE_PGM_RSRC2:TGID_X_EN: 1
; COMPUTE_PGM_RSRC2:TGID_Y_EN: 0
; COMPUTE_PGM_RSRC2:TGID_Z_EN: 0
; COMPUTE_PGM_RSRC2:TIDIG_COMP_CNT: 0
; COMPUTE_PGM_RSRC3_GFX90A:ACCUM_OFFSET: 6
; COMPUTE_PGM_RSRC3_GFX90A:TG_SPLIT: 0
	.section	.text._Z30fast_hadamard_transform_kernelI37fast_hadamard_transform_kernel_traitsILi16ELi7E6__halfEEv18HadamardParamsBase,"axG",@progbits,_Z30fast_hadamard_transform_kernelI37fast_hadamard_transform_kernel_traitsILi16ELi7E6__halfEEv18HadamardParamsBase,comdat
	.protected	_Z30fast_hadamard_transform_kernelI37fast_hadamard_transform_kernel_traitsILi16ELi7E6__halfEEv18HadamardParamsBase ; -- Begin function _Z30fast_hadamard_transform_kernelI37fast_hadamard_transform_kernel_traitsILi16ELi7E6__halfEEv18HadamardParamsBase
	.globl	_Z30fast_hadamard_transform_kernelI37fast_hadamard_transform_kernel_traitsILi16ELi7E6__halfEEv18HadamardParamsBase
	.p2align	8
	.type	_Z30fast_hadamard_transform_kernelI37fast_hadamard_transform_kernel_traitsILi16ELi7E6__halfEEv18HadamardParamsBase,@function
_Z30fast_hadamard_transform_kernelI37fast_hadamard_transform_kernel_traitsILi16ELi7E6__halfEEv18HadamardParamsBase: ; @_Z30fast_hadamard_transform_kernelI37fast_hadamard_transform_kernel_traitsILi16ELi7E6__halfEEv18HadamardParamsBase
; %bb.0:
	s_load_dword s0, s[4:5], 0x4
	v_lshlrev_b32_e32 v1, 3, v0
	v_mov_b32_e32 v3, 0
	s_ashr_i32 s2, s6, 31
	v_mov_b32_e32 v7, 0
	s_waitcnt lgkmcnt(0)
	v_cmp_gt_u32_e32 vcc, s0, v1
	v_lshlrev_b32_e32 v1, 4, v0
	v_mov_b32_e32 v5, 0
	v_mov_b32_e32 v9, 0
	v_mov_b32_e32 v2, v3
	v_mov_b32_e32 v6, v3
	v_mov_b32_e32 v4, v3
	v_mov_b32_e32 v8, v3
	s_and_saveexec_b64 s[0:1], vcc
	s_cbranch_execz .LBB17_2
; %bb.1:
	s_load_dwordx2 s[8:9], s[4:5], 0x10
	s_load_dwordx2 s[10:11], s[4:5], 0x28
	s_waitcnt lgkmcnt(0)
	s_mul_i32 s3, s8, s2
	s_mul_hi_u32 s7, s8, s6
	s_mul_i32 s9, s9, s6
	s_add_i32 s3, s7, s3
	s_mul_i32 s8, s8, s6
	s_add_i32 s9, s3, s9
	s_lshl_b64 s[8:9], s[8:9], 1
	s_add_u32 s8, s10, s8
	s_addc_u32 s9, s11, s9
	global_load_dwordx4 v[8:11], v1, s[8:9]
	s_waitcnt vmcnt(0)
	v_cvt_f32_f16_e32 v4, v8
	v_cvt_f32_f16_sdwa v8, v8 dst_sel:DWORD dst_unused:UNUSED_PAD src0_sel:WORD_1
	v_cvt_f32_f16_e32 v2, v9
	v_cvt_f32_f16_sdwa v6, v9 dst_sel:DWORD dst_unused:UNUSED_PAD src0_sel:WORD_1
	;; [unrolled: 2-line block ×4, first 2 shown]
.LBB17_2:
	s_or_b64 exec, exec, s[0:1]
	v_pk_add_f32 v[10:11], v[8:9], v[4:5]
	v_pk_add_f32 v[12:13], v[6:7], v[2:3]
	v_pk_add_f32 v[4:5], v[4:5], v[8:9] neg_lo:[0,1] neg_hi:[0,1]
	v_pk_add_f32 v[2:3], v[2:3], v[6:7] neg_lo:[0,1] neg_hi:[0,1]
	v_pk_add_f32 v[14:15], v[12:13], v[10:11]
	v_pk_add_f32 v[6:7], v[2:3], v[4:5]
	v_pk_add_f32 v[10:11], v[10:11], v[12:13] neg_lo:[0,1] neg_hi:[0,1]
	v_pk_add_f32 v[2:3], v[4:5], v[2:3] neg_lo:[0,1] neg_hi:[0,1]
	v_mov_b32_e32 v4, v15
	v_mov_b32_e32 v12, v7
	v_pk_add_f32 v[8:9], v[4:5], v[14:15]
	v_pk_add_f32 v[4:5], v[14:15], v[4:5] neg_lo:[0,1] neg_hi:[0,1]
	v_pk_add_f32 v[14:15], v[12:13], v[6:7]
	v_pk_add_f32 v[6:7], v[6:7], v[12:13] neg_lo:[0,1] neg_hi:[0,1]
	v_mov_b32_e32 v12, v11
	v_pk_add_f32 v[16:17], v[12:13], v[10:11]
	v_pk_add_f32 v[10:11], v[10:11], v[12:13] neg_lo:[0,1] neg_hi:[0,1]
	v_mov_b32_e32 v12, v3
	v_pk_add_f32 v[18:19], v[12:13], v[2:3]
	v_pk_add_f32 v[2:3], v[2:3], v[12:13] neg_lo:[0,1] neg_hi:[0,1]
	v_mbcnt_lo_u32_b32 v3, -1, 0
	v_mbcnt_hi_u32_b32 v26, -1, v3
	v_and_b32_e32 v3, 64, v26
	v_add_u32_e32 v27, 64, v3
	v_xor_b32_e32 v5, 1, v26
	v_cmp_lt_i32_e64 s[0:1], v5, v27
	v_cndmask_b32_e64 v5, v26, v5, s[0:1]
	v_lshlrev_b32_e32 v5, 2, v5
	ds_bpermute_b32 v12, v5, v8
	ds_bpermute_b32 v13, v5, v14
	;; [unrolled: 1-line block ×8, first 2 shown]
	v_xor_b32_e32 v5, 2, v26
	v_cmp_lt_i32_e64 s[0:1], v5, v27
	v_cndmask_b32_e64 v5, v26, v5, s[0:1]
	v_lshlrev_b32_e32 v17, 2, v5
	v_xor_b32_e32 v5, 4, v26
	v_and_b32_e32 v3, 1, v0
	v_cmp_lt_i32_e64 s[0:1], v5, v27
	v_cndmask_b32_e64 v5, v26, v5, s[0:1]
	v_cmp_eq_u32_e64 s[0:1], 0, v3
	v_lshlrev_b32_e32 v29, 2, v5
	v_cndmask_b32_e64 v5, -v6, v6, s[0:1]
	v_cndmask_b32_e64 v4, -v4, v4, s[0:1]
	;; [unrolled: 1-line block ×5, first 2 shown]
	s_waitcnt lgkmcnt(2)
	v_pk_add_f32 v[4:5], v[4:5], v[22:23]
	v_pk_add_f32 v[6:7], v[14:15], v[20:21]
	ds_bpermute_b32 v14, v17, v4
	ds_bpermute_b32 v15, v17, v5
	v_cndmask_b32_e64 v8, -v8, v8, s[0:1]
	v_cndmask_b32_e64 v3, -v2, v2, s[0:1]
	v_cndmask_b32_e64 v2, -v10, v10, s[0:1]
	v_and_b32_e32 v19, 2, v0
	s_waitcnt lgkmcnt(2)
	v_pk_add_f32 v[2:3], v[2:3], v[24:25]
	v_pk_add_f32 v[8:9], v[8:9], v[12:13]
	ds_bpermute_b32 v10, v17, v8
	ds_bpermute_b32 v11, v17, v9
	ds_bpermute_b32 v12, v17, v6
	ds_bpermute_b32 v13, v17, v7
	ds_bpermute_b32 v16, v17, v2
	ds_bpermute_b32 v17, v17, v3
	v_cmp_eq_u32_e64 s[0:1], 0, v19
	v_cndmask_b32_e64 v5, -v5, v5, s[0:1]
	v_cndmask_b32_e64 v4, -v4, v4, s[0:1]
	s_waitcnt lgkmcnt(6)
	v_pk_add_f32 v[4:5], v[4:5], v[14:15]
	ds_bpermute_b32 v14, v29, v4
	ds_bpermute_b32 v15, v29, v5
	v_cndmask_b32_e64 v9, -v9, v9, s[0:1]
	v_cndmask_b32_e64 v8, -v8, v8, s[0:1]
	;; [unrolled: 1-line block ×6, first 2 shown]
	v_and_b32_e32 v28, 4, v0
	s_waitcnt lgkmcnt(2)
	v_pk_add_f32 v[2:3], v[2:3], v[16:17]
	v_pk_add_f32 v[6:7], v[6:7], v[12:13]
	;; [unrolled: 1-line block ×3, first 2 shown]
	ds_bpermute_b32 v12, v29, v8
	ds_bpermute_b32 v13, v29, v9
	;; [unrolled: 1-line block ×6, first 2 shown]
	v_cmp_eq_u32_e64 s[0:1], 0, v28
	v_cndmask_b32_e64 v5, -v5, v5, s[0:1]
	v_cndmask_b32_e64 v4, -v4, v4, s[0:1]
	;; [unrolled: 1-line block ×4, first 2 shown]
	s_waitcnt lgkmcnt(6)
	v_pk_add_f32 v[6:7], v[4:5], v[14:15]
	v_xor_b32_e32 v4, 8, v26
	v_cndmask_b32_e64 v9, -v9, v9, s[0:1]
	v_cndmask_b32_e64 v8, -v8, v8, s[0:1]
	;; [unrolled: 1-line block ×4, first 2 shown]
	v_cmp_lt_i32_e64 s[0:1], v4, v27
	v_cndmask_b32_e64 v4, v26, v4, s[0:1]
	s_waitcnt lgkmcnt(0)
	v_pk_add_f32 v[2:3], v[2:3], v[16:17]
	v_pk_add_f32 v[10:11], v[18:19], v[10:11]
	v_pk_add_f32 v[14:15], v[8:9], v[12:13]
	v_lshlrev_b32_e32 v17, 2, v4
	ds_bpermute_b32 v4, v17, v14
	ds_bpermute_b32 v5, v17, v15
	;; [unrolled: 1-line block ×8, first 2 shown]
	s_and_saveexec_b64 s[0:1], vcc
	s_cbranch_execz .LBB17_4
; %bb.3:
	s_load_dwordx2 s[0:1], s[4:5], 0x18
	s_load_dwordx2 s[8:9], s[4:5], 0x30
	s_load_dword s10, s[4:5], 0x20
	v_and_b32_e32 v0, 8, v0
	v_cmp_eq_u32_e32 vcc, 0, v0
	v_cndmask_b32_e64 v15, -v15, v15, vcc
	v_cndmask_b32_e64 v14, -v14, v14, vcc
	;; [unrolled: 1-line block ×8, first 2 shown]
	s_waitcnt lgkmcnt(0)
	v_pk_add_f32 v[2:3], v[2:3], v[16:17]
	v_pk_add_f32 v[6:7], v[6:7], v[12:13]
	;; [unrolled: 1-line block ×4, first 2 shown]
	s_mul_i32 s2, s0, s2
	s_mul_hi_u32 s3, s0, s6
	v_pk_mul_f32 v[4:5], s[10:11], v[4:5] op_sel_hi:[0,1]
	v_pk_mul_f32 v[8:9], s[10:11], v[8:9] op_sel_hi:[0,1]
	;; [unrolled: 1-line block ×4, first 2 shown]
	s_mul_i32 s1, s1, s6
	s_add_i32 s2, s3, s2
	v_cvt_f16_f32_e32 v0, v3
	v_cvt_f16_f32_e32 v2, v2
	;; [unrolled: 1-line block ×8, first 2 shown]
	s_add_i32 s1, s2, s1
	s_mul_i32 s0, s0, s6
	s_lshl_b64 s[0:1], s[0:1], 1
	s_add_u32 s0, s8, s0
	s_addc_u32 s1, s9, s1
	v_pack_b32_f16 v5, v2, v0
	v_pack_b32_f16 v4, v6, v3
	;; [unrolled: 1-line block ×4, first 2 shown]
	global_store_dwordx4 v1, v[2:5], s[0:1]
.LBB17_4:
	s_endpgm
	.section	.rodata,"a",@progbits
	.p2align	6, 0x0
	.amdhsa_kernel _Z30fast_hadamard_transform_kernelI37fast_hadamard_transform_kernel_traitsILi16ELi7E6__halfEEv18HadamardParamsBase
		.amdhsa_group_segment_fixed_size 0
		.amdhsa_private_segment_fixed_size 0
		.amdhsa_kernarg_size 56
		.amdhsa_user_sgpr_count 6
		.amdhsa_user_sgpr_private_segment_buffer 1
		.amdhsa_user_sgpr_dispatch_ptr 0
		.amdhsa_user_sgpr_queue_ptr 0
		.amdhsa_user_sgpr_kernarg_segment_ptr 1
		.amdhsa_user_sgpr_dispatch_id 0
		.amdhsa_user_sgpr_flat_scratch_init 0
		.amdhsa_user_sgpr_kernarg_preload_length 0
		.amdhsa_user_sgpr_kernarg_preload_offset 0
		.amdhsa_user_sgpr_private_segment_size 0
		.amdhsa_uses_dynamic_stack 0
		.amdhsa_system_sgpr_private_segment_wavefront_offset 0
		.amdhsa_system_sgpr_workgroup_id_x 1
		.amdhsa_system_sgpr_workgroup_id_y 0
		.amdhsa_system_sgpr_workgroup_id_z 0
		.amdhsa_system_sgpr_workgroup_info 0
		.amdhsa_system_vgpr_workitem_id 0
		.amdhsa_next_free_vgpr 30
		.amdhsa_next_free_sgpr 12
		.amdhsa_accum_offset 32
		.amdhsa_reserve_vcc 1
		.amdhsa_reserve_flat_scratch 0
		.amdhsa_float_round_mode_32 0
		.amdhsa_float_round_mode_16_64 0
		.amdhsa_float_denorm_mode_32 3
		.amdhsa_float_denorm_mode_16_64 3
		.amdhsa_dx10_clamp 1
		.amdhsa_ieee_mode 1
		.amdhsa_fp16_overflow 0
		.amdhsa_tg_split 0
		.amdhsa_exception_fp_ieee_invalid_op 0
		.amdhsa_exception_fp_denorm_src 0
		.amdhsa_exception_fp_ieee_div_zero 0
		.amdhsa_exception_fp_ieee_overflow 0
		.amdhsa_exception_fp_ieee_underflow 0
		.amdhsa_exception_fp_ieee_inexact 0
		.amdhsa_exception_int_div_zero 0
	.end_amdhsa_kernel
	.section	.text._Z30fast_hadamard_transform_kernelI37fast_hadamard_transform_kernel_traitsILi16ELi7E6__halfEEv18HadamardParamsBase,"axG",@progbits,_Z30fast_hadamard_transform_kernelI37fast_hadamard_transform_kernel_traitsILi16ELi7E6__halfEEv18HadamardParamsBase,comdat
.Lfunc_end17:
	.size	_Z30fast_hadamard_transform_kernelI37fast_hadamard_transform_kernel_traitsILi16ELi7E6__halfEEv18HadamardParamsBase, .Lfunc_end17-_Z30fast_hadamard_transform_kernelI37fast_hadamard_transform_kernel_traitsILi16ELi7E6__halfEEv18HadamardParamsBase
                                        ; -- End function
	.section	.AMDGPU.csdata,"",@progbits
; Kernel info:
; codeLenInByte = 1340
; NumSgprs: 16
; NumVgprs: 30
; NumAgprs: 0
; TotalNumVgprs: 30
; ScratchSize: 0
; MemoryBound: 0
; FloatMode: 240
; IeeeMode: 1
; LDSByteSize: 0 bytes/workgroup (compile time only)
; SGPRBlocks: 1
; VGPRBlocks: 3
; NumSGPRsForWavesPerEU: 16
; NumVGPRsForWavesPerEU: 30
; AccumOffset: 32
; Occupancy: 8
; WaveLimiterHint : 0
; COMPUTE_PGM_RSRC2:SCRATCH_EN: 0
; COMPUTE_PGM_RSRC2:USER_SGPR: 6
; COMPUTE_PGM_RSRC2:TRAP_HANDLER: 0
; COMPUTE_PGM_RSRC2:TGID_X_EN: 1
; COMPUTE_PGM_RSRC2:TGID_Y_EN: 0
; COMPUTE_PGM_RSRC2:TGID_Z_EN: 0
; COMPUTE_PGM_RSRC2:TIDIG_COMP_CNT: 0
; COMPUTE_PGM_RSRC3_GFX90A:ACCUM_OFFSET: 7
; COMPUTE_PGM_RSRC3_GFX90A:TG_SPLIT: 0
	.section	.text._Z30fast_hadamard_transform_kernelI37fast_hadamard_transform_kernel_traitsILi32ELi8E6__halfEEv18HadamardParamsBase,"axG",@progbits,_Z30fast_hadamard_transform_kernelI37fast_hadamard_transform_kernel_traitsILi32ELi8E6__halfEEv18HadamardParamsBase,comdat
	.protected	_Z30fast_hadamard_transform_kernelI37fast_hadamard_transform_kernel_traitsILi32ELi8E6__halfEEv18HadamardParamsBase ; -- Begin function _Z30fast_hadamard_transform_kernelI37fast_hadamard_transform_kernel_traitsILi32ELi8E6__halfEEv18HadamardParamsBase
	.globl	_Z30fast_hadamard_transform_kernelI37fast_hadamard_transform_kernel_traitsILi32ELi8E6__halfEEv18HadamardParamsBase
	.p2align	8
	.type	_Z30fast_hadamard_transform_kernelI37fast_hadamard_transform_kernel_traitsILi32ELi8E6__halfEEv18HadamardParamsBase,@function
_Z30fast_hadamard_transform_kernelI37fast_hadamard_transform_kernel_traitsILi32ELi8E6__halfEEv18HadamardParamsBase: ; @_Z30fast_hadamard_transform_kernelI37fast_hadamard_transform_kernel_traitsILi32ELi8E6__halfEEv18HadamardParamsBase
; %bb.0:
	s_load_dword s0, s[4:5], 0x4
	s_load_dwordx4 s[8:11], s[4:5], 0x20
	v_lshlrev_b32_e32 v1, 3, v0
	v_mov_b32_e32 v3, 0
	s_ashr_i32 s2, s6, 31
	s_waitcnt lgkmcnt(0)
	v_cmp_gt_u32_e32 vcc, s0, v1
	v_lshlrev_b32_e32 v1, 4, v0
	v_mov_b32_e32 v7, 0
	v_mov_b32_e32 v5, 0
	;; [unrolled: 1-line block ×7, first 2 shown]
	s_and_saveexec_b64 s[0:1], vcc
	s_cbranch_execz .LBB18_2
; %bb.1:
	s_load_dwordx2 s[12:13], s[4:5], 0x10
	s_waitcnt lgkmcnt(0)
	s_mul_i32 s3, s12, s2
	s_mul_hi_u32 s7, s12, s6
	s_mul_i32 s13, s13, s6
	s_add_i32 s3, s7, s3
	s_mul_i32 s12, s12, s6
	s_add_i32 s13, s3, s13
	s_lshl_b64 s[12:13], s[12:13], 1
	s_add_u32 s10, s10, s12
	s_addc_u32 s11, s11, s13
	global_load_dwordx4 v[8:11], v1, s[10:11]
	s_waitcnt vmcnt(0)
	v_cvt_f32_f16_e32 v4, v8
	v_cvt_f32_f16_sdwa v8, v8 dst_sel:DWORD dst_unused:UNUSED_PAD src0_sel:WORD_1
	v_cvt_f32_f16_e32 v2, v9
	v_cvt_f32_f16_sdwa v6, v9 dst_sel:DWORD dst_unused:UNUSED_PAD src0_sel:WORD_1
	;; [unrolled: 2-line block ×4, first 2 shown]
.LBB18_2:
	s_or_b64 exec, exec, s[0:1]
	v_pk_add_f32 v[10:11], v[8:9], v[4:5]
	v_pk_add_f32 v[12:13], v[6:7], v[2:3]
	v_pk_add_f32 v[4:5], v[4:5], v[8:9] neg_lo:[0,1] neg_hi:[0,1]
	v_pk_add_f32 v[2:3], v[2:3], v[6:7] neg_lo:[0,1] neg_hi:[0,1]
	v_pk_add_f32 v[14:15], v[12:13], v[10:11]
	v_pk_add_f32 v[6:7], v[2:3], v[4:5]
	v_pk_add_f32 v[10:11], v[10:11], v[12:13] neg_lo:[0,1] neg_hi:[0,1]
	v_pk_add_f32 v[2:3], v[4:5], v[2:3] neg_lo:[0,1] neg_hi:[0,1]
	v_mov_b32_e32 v4, v15
	v_mov_b32_e32 v12, v7
	v_pk_add_f32 v[8:9], v[4:5], v[14:15]
	v_pk_add_f32 v[4:5], v[14:15], v[4:5] neg_lo:[0,1] neg_hi:[0,1]
	v_pk_add_f32 v[14:15], v[12:13], v[6:7]
	v_pk_add_f32 v[6:7], v[6:7], v[12:13] neg_lo:[0,1] neg_hi:[0,1]
	v_mov_b32_e32 v12, v11
	v_pk_add_f32 v[16:17], v[12:13], v[10:11]
	v_pk_add_f32 v[10:11], v[10:11], v[12:13] neg_lo:[0,1] neg_hi:[0,1]
	v_mov_b32_e32 v12, v3
	v_pk_add_f32 v[18:19], v[12:13], v[2:3]
	v_pk_add_f32 v[2:3], v[2:3], v[12:13] neg_lo:[0,1] neg_hi:[0,1]
	v_mbcnt_lo_u32_b32 v3, -1, 0
	v_mbcnt_hi_u32_b32 v15, -1, v3
	v_and_b32_e32 v3, 64, v15
	v_add_u32_e32 v17, 64, v3
	v_xor_b32_e32 v3, 1, v15
	v_cmp_lt_i32_e64 s[0:1], v3, v17
	v_cndmask_b32_e64 v3, v15, v3, s[0:1]
	v_lshlrev_b32_e32 v3, 2, v3
	ds_bpermute_b32 v5, v3, v8
	v_and_b32_e32 v7, 1, v0
	v_cmp_eq_u32_e64 s[0:1], 0, v7
	v_cndmask_b32_e64 v7, -v8, v8, s[0:1]
	ds_bpermute_b32 v9, v3, v14
	s_waitcnt lgkmcnt(1)
	v_add_f32_e32 v5, v7, v5
	ds_bpermute_b32 v7, v3, v16
	v_cndmask_b32_e64 v8, -v14, v14, s[0:1]
	v_cndmask_b32_e64 v11, -v16, v16, s[0:1]
	s_waitcnt lgkmcnt(1)
	v_add_f32_e32 v8, v8, v9
	ds_bpermute_b32 v9, v3, v18
	s_waitcnt lgkmcnt(1)
	v_add_f32_e32 v7, v11, v7
	ds_bpermute_b32 v11, v3, v4
	v_cndmask_b32_e64 v12, -v18, v18, s[0:1]
	v_cndmask_b32_e64 v4, -v4, v4, s[0:1]
	s_waitcnt lgkmcnt(1)
	v_add_f32_e32 v9, v12, v9
	ds_bpermute_b32 v12, v3, v6
	s_waitcnt lgkmcnt(1)
	v_add_f32_e32 v4, v4, v11
	ds_bpermute_b32 v11, v3, v10
	ds_bpermute_b32 v3, v3, v2
	v_cndmask_b32_e64 v2, -v2, v2, s[0:1]
	v_cndmask_b32_e64 v6, -v6, v6, s[0:1]
	;; [unrolled: 1-line block ×3, first 2 shown]
	s_waitcnt lgkmcnt(1)
	v_add_f32_e32 v10, v10, v11
	s_waitcnt lgkmcnt(0)
	v_add_f32_e32 v2, v2, v3
	v_xor_b32_e32 v3, 2, v15
	v_cmp_lt_i32_e64 s[0:1], v3, v17
	v_cndmask_b32_e64 v3, v15, v3, s[0:1]
	v_lshlrev_b32_e32 v3, 2, v3
	ds_bpermute_b32 v11, v3, v5
	v_add_f32_e32 v6, v6, v12
	v_and_b32_e32 v12, 2, v0
	v_cmp_eq_u32_e64 s[0:1], 0, v12
	v_cndmask_b32_e64 v5, -v5, v5, s[0:1]
	s_waitcnt lgkmcnt(0)
	v_add_f32_e32 v5, v5, v11
	ds_bpermute_b32 v11, v3, v7
	v_cndmask_b32_e64 v7, -v7, v7, s[0:1]
	ds_bpermute_b32 v12, v3, v9
	v_cndmask_b32_e64 v9, -v9, v9, s[0:1]
	ds_bpermute_b32 v13, v3, v8
	s_waitcnt lgkmcnt(2)
	v_add_f32_e32 v7, v7, v11
	ds_bpermute_b32 v11, v3, v4
	v_cndmask_b32_e64 v4, -v4, v4, s[0:1]
	s_waitcnt lgkmcnt(2)
	v_add_f32_e32 v9, v9, v12
	ds_bpermute_b32 v12, v3, v6
	v_cndmask_b32_e64 v8, -v8, v8, s[0:1]
	s_waitcnt lgkmcnt(1)
	v_add_f32_e32 v4, v4, v11
	ds_bpermute_b32 v11, v3, v10
	ds_bpermute_b32 v3, v3, v2
	v_cndmask_b32_e64 v2, -v2, v2, s[0:1]
	v_cndmask_b32_e64 v6, -v6, v6, s[0:1]
	;; [unrolled: 1-line block ×3, first 2 shown]
	s_waitcnt lgkmcnt(1)
	v_add_f32_e32 v10, v10, v11
	s_waitcnt lgkmcnt(0)
	v_add_f32_e32 v2, v2, v3
	v_xor_b32_e32 v3, 4, v15
	v_cmp_lt_i32_e64 s[0:1], v3, v17
	v_cndmask_b32_e64 v3, v15, v3, s[0:1]
	v_lshlrev_b32_e32 v3, 2, v3
	ds_bpermute_b32 v11, v3, v5
	v_add_f32_e32 v6, v6, v12
	v_and_b32_e32 v12, 4, v0
	v_cmp_eq_u32_e64 s[0:1], 0, v12
	v_cndmask_b32_e64 v5, -v5, v5, s[0:1]
	s_waitcnt lgkmcnt(0)
	v_add_f32_e32 v5, v5, v11
	ds_bpermute_b32 v11, v3, v7
	v_add_f32_e32 v8, v8, v13
	v_cndmask_b32_e64 v7, -v7, v7, s[0:1]
	ds_bpermute_b32 v13, v3, v8
	ds_bpermute_b32 v12, v3, v9
	s_waitcnt lgkmcnt(2)
	v_add_f32_e32 v11, v7, v11
	ds_bpermute_b32 v7, v3, v4
	v_cndmask_b32_e64 v8, -v8, v8, s[0:1]
	v_cndmask_b32_e64 v9, -v9, v9, s[0:1]
	;; [unrolled: 1-line block ×3, first 2 shown]
	s_waitcnt lgkmcnt(2)
	v_add_f32_e32 v8, v8, v13
	s_waitcnt lgkmcnt(1)
	v_add_f32_e32 v9, v9, v12
	ds_bpermute_b32 v12, v3, v6
	s_waitcnt lgkmcnt(1)
	v_add_f32_e32 v13, v4, v7
	ds_bpermute_b32 v4, v3, v10
	ds_bpermute_b32 v3, v3, v2
	v_cndmask_b32_e64 v2, -v2, v2, s[0:1]
	v_cndmask_b32_e64 v6, -v6, v6, s[0:1]
	s_waitcnt lgkmcnt(2)
	v_add_f32_e32 v12, v6, v12
	v_cndmask_b32_e64 v6, -v10, v10, s[0:1]
	s_waitcnt lgkmcnt(0)
	v_add_f32_e32 v16, v2, v3
	v_xor_b32_e32 v3, 8, v15
	v_cmp_lt_i32_e64 s[0:1], v3, v17
	v_cndmask_b32_e64 v3, v15, v3, s[0:1]
	v_and_b32_e32 v2, 8, v0
	v_lshlrev_b32_e32 v18, 2, v3
	v_cmp_eq_u32_e64 s[0:1], 0, v2
	ds_bpermute_b32 v2, v18, v11
	ds_bpermute_b32 v3, v18, v9
	v_add_f32_e32 v14, v6, v4
	ds_bpermute_b32 v4, v18, v5
	v_cndmask_b32_e64 v6, -v5, v5, s[0:1]
	ds_bpermute_b32 v5, v18, v8
	v_cndmask_b32_e64 v7, -v8, v8, s[0:1]
	v_cndmask_b32_e64 v8, -v11, v11, s[0:1]
	v_cndmask_b32_e64 v9, -v9, v9, s[0:1]
	s_waitcnt lgkmcnt(2)
	v_pk_add_f32 v[2:3], v[8:9], v[2:3]
	ds_bpermute_b32 v8, v18, v13
	ds_bpermute_b32 v9, v18, v12
	s_waitcnt lgkmcnt(2)
	v_pk_add_f32 v[6:7], v[6:7], v[4:5]
	ds_bpermute_b32 v4, v18, v14
	ds_bpermute_b32 v5, v18, v16
	v_cndmask_b32_e64 v10, -v13, v13, s[0:1]
	v_cndmask_b32_e64 v11, -v12, v12, s[0:1]
	s_waitcnt lgkmcnt(2)
	v_pk_add_f32 v[8:9], v[10:11], v[8:9]
	v_xor_b32_e32 v10, 16, v15
	v_cndmask_b32_e64 v12, -v14, v14, s[0:1]
	v_cndmask_b32_e64 v13, -v16, v16, s[0:1]
	v_cmp_lt_i32_e64 s[0:1], v10, v17
	v_cndmask_b32_e64 v10, v15, v10, s[0:1]
	s_waitcnt lgkmcnt(0)
	v_pk_add_f32 v[4:5], v[12:13], v[4:5]
	v_lshlrev_b32_e32 v11, 2, v10
	ds_bpermute_b32 v16, v11, v6
	ds_bpermute_b32 v17, v11, v7
	;; [unrolled: 1-line block ×8, first 2 shown]
	s_and_saveexec_b64 s[0:1], vcc
	s_cbranch_execz .LBB18_4
; %bb.3:
	s_load_dwordx2 s[0:1], s[4:5], 0x18
	s_load_dwordx2 s[10:11], s[4:5], 0x30
	v_and_b32_e32 v0, 16, v0
	v_cmp_eq_u32_e32 vcc, 0, v0
	v_cndmask_b32_e64 v3, -v3, v3, vcc
	v_cndmask_b32_e64 v2, -v2, v2, vcc
	;; [unrolled: 1-line block ×8, first 2 shown]
	s_waitcnt lgkmcnt(0)
	v_pk_add_f32 v[6:7], v[6:7], v[16:17]
	v_pk_add_f32 v[2:3], v[2:3], v[14:15]
	v_pk_add_f32 v[8:9], v[8:9], v[12:13]
	v_pk_add_f32 v[4:5], v[4:5], v[10:11]
	s_mul_i32 s2, s0, s2
	s_mul_hi_u32 s3, s0, s6
	v_pk_mul_f32 v[2:3], s[8:9], v[2:3] op_sel_hi:[0,1]
	v_pk_mul_f32 v[6:7], s[8:9], v[6:7] op_sel_hi:[0,1]
	;; [unrolled: 1-line block ×4, first 2 shown]
	s_mul_i32 s1, s1, s6
	s_add_i32 s2, s3, s2
	v_cvt_f16_f32_e32 v0, v7
	v_cvt_f16_f32_e32 v3, v3
	v_cvt_f16_f32_e32 v7, v9
	v_cvt_f16_f32_e32 v5, v5
	v_cvt_f16_f32_e32 v4, v4
	v_cvt_f16_f32_e32 v8, v8
	v_cvt_f16_f32_e32 v2, v2
	v_cvt_f16_f32_e32 v6, v6
	s_mul_i32 s0, s0, s6
	s_add_i32 s1, s2, s1
	s_lshl_b64 s[0:1], s[0:1], 1
	s_add_u32 s0, s10, s0
	s_addc_u32 s1, s11, s1
	v_pack_b32_f16 v5, v4, v5
	v_pack_b32_f16 v4, v8, v7
	;; [unrolled: 1-line block ×4, first 2 shown]
	global_store_dwordx4 v1, v[2:5], s[0:1]
.LBB18_4:
	s_endpgm
	.section	.rodata,"a",@progbits
	.p2align	6, 0x0
	.amdhsa_kernel _Z30fast_hadamard_transform_kernelI37fast_hadamard_transform_kernel_traitsILi32ELi8E6__halfEEv18HadamardParamsBase
		.amdhsa_group_segment_fixed_size 0
		.amdhsa_private_segment_fixed_size 0
		.amdhsa_kernarg_size 56
		.amdhsa_user_sgpr_count 6
		.amdhsa_user_sgpr_private_segment_buffer 1
		.amdhsa_user_sgpr_dispatch_ptr 0
		.amdhsa_user_sgpr_queue_ptr 0
		.amdhsa_user_sgpr_kernarg_segment_ptr 1
		.amdhsa_user_sgpr_dispatch_id 0
		.amdhsa_user_sgpr_flat_scratch_init 0
		.amdhsa_user_sgpr_kernarg_preload_length 0
		.amdhsa_user_sgpr_kernarg_preload_offset 0
		.amdhsa_user_sgpr_private_segment_size 0
		.amdhsa_uses_dynamic_stack 0
		.amdhsa_system_sgpr_private_segment_wavefront_offset 0
		.amdhsa_system_sgpr_workgroup_id_x 1
		.amdhsa_system_sgpr_workgroup_id_y 0
		.amdhsa_system_sgpr_workgroup_id_z 0
		.amdhsa_system_sgpr_workgroup_info 0
		.amdhsa_system_vgpr_workitem_id 0
		.amdhsa_next_free_vgpr 20
		.amdhsa_next_free_sgpr 14
		.amdhsa_accum_offset 20
		.amdhsa_reserve_vcc 1
		.amdhsa_reserve_flat_scratch 0
		.amdhsa_float_round_mode_32 0
		.amdhsa_float_round_mode_16_64 0
		.amdhsa_float_denorm_mode_32 3
		.amdhsa_float_denorm_mode_16_64 3
		.amdhsa_dx10_clamp 1
		.amdhsa_ieee_mode 1
		.amdhsa_fp16_overflow 0
		.amdhsa_tg_split 0
		.amdhsa_exception_fp_ieee_invalid_op 0
		.amdhsa_exception_fp_denorm_src 0
		.amdhsa_exception_fp_ieee_div_zero 0
		.amdhsa_exception_fp_ieee_overflow 0
		.amdhsa_exception_fp_ieee_underflow 0
		.amdhsa_exception_fp_ieee_inexact 0
		.amdhsa_exception_int_div_zero 0
	.end_amdhsa_kernel
	.section	.text._Z30fast_hadamard_transform_kernelI37fast_hadamard_transform_kernel_traitsILi32ELi8E6__halfEEv18HadamardParamsBase,"axG",@progbits,_Z30fast_hadamard_transform_kernelI37fast_hadamard_transform_kernel_traitsILi32ELi8E6__halfEEv18HadamardParamsBase,comdat
.Lfunc_end18:
	.size	_Z30fast_hadamard_transform_kernelI37fast_hadamard_transform_kernel_traitsILi32ELi8E6__halfEEv18HadamardParamsBase, .Lfunc_end18-_Z30fast_hadamard_transform_kernelI37fast_hadamard_transform_kernel_traitsILi32ELi8E6__halfEEv18HadamardParamsBase
                                        ; -- End function
	.section	.AMDGPU.csdata,"",@progbits
; Kernel info:
; codeLenInByte = 1600
; NumSgprs: 18
; NumVgprs: 20
; NumAgprs: 0
; TotalNumVgprs: 20
; ScratchSize: 0
; MemoryBound: 0
; FloatMode: 240
; IeeeMode: 1
; LDSByteSize: 0 bytes/workgroup (compile time only)
; SGPRBlocks: 2
; VGPRBlocks: 2
; NumSGPRsForWavesPerEU: 18
; NumVGPRsForWavesPerEU: 20
; AccumOffset: 20
; Occupancy: 8
; WaveLimiterHint : 0
; COMPUTE_PGM_RSRC2:SCRATCH_EN: 0
; COMPUTE_PGM_RSRC2:USER_SGPR: 6
; COMPUTE_PGM_RSRC2:TRAP_HANDLER: 0
; COMPUTE_PGM_RSRC2:TGID_X_EN: 1
; COMPUTE_PGM_RSRC2:TGID_Y_EN: 0
; COMPUTE_PGM_RSRC2:TGID_Z_EN: 0
; COMPUTE_PGM_RSRC2:TIDIG_COMP_CNT: 0
; COMPUTE_PGM_RSRC3_GFX90A:ACCUM_OFFSET: 4
; COMPUTE_PGM_RSRC3_GFX90A:TG_SPLIT: 0
	.section	.text._Z30fast_hadamard_transform_kernelI37fast_hadamard_transform_kernel_traitsILi32ELi9E6__halfEEv18HadamardParamsBase,"axG",@progbits,_Z30fast_hadamard_transform_kernelI37fast_hadamard_transform_kernel_traitsILi32ELi9E6__halfEEv18HadamardParamsBase,comdat
	.protected	_Z30fast_hadamard_transform_kernelI37fast_hadamard_transform_kernel_traitsILi32ELi9E6__halfEEv18HadamardParamsBase ; -- Begin function _Z30fast_hadamard_transform_kernelI37fast_hadamard_transform_kernel_traitsILi32ELi9E6__halfEEv18HadamardParamsBase
	.globl	_Z30fast_hadamard_transform_kernelI37fast_hadamard_transform_kernel_traitsILi32ELi9E6__halfEEv18HadamardParamsBase
	.p2align	8
	.type	_Z30fast_hadamard_transform_kernelI37fast_hadamard_transform_kernel_traitsILi32ELi9E6__halfEEv18HadamardParamsBase,@function
_Z30fast_hadamard_transform_kernelI37fast_hadamard_transform_kernel_traitsILi32ELi9E6__halfEEv18HadamardParamsBase: ; @_Z30fast_hadamard_transform_kernelI37fast_hadamard_transform_kernel_traitsILi32ELi9E6__halfEEv18HadamardParamsBase
; %bb.0:
	s_load_dwordx8 s[8:15], s[4:5], 0x10
	s_ashr_i32 s7, s6, 31
	s_waitcnt lgkmcnt(0)
	s_load_dword s13, s[4:5], 0x4
	v_lshlrev_b32_e32 v1, 3, v0
	v_mov_b32_e32 v3, 0
	s_mul_hi_u32 s0, s8, s6
	s_mul_i32 s1, s8, s7
	s_add_i32 s0, s0, s1
	s_mul_i32 s1, s9, s6
	s_add_i32 s1, s0, s1
	s_mul_i32 s0, s8, s6
	s_lshl_b64 s[0:1], s[0:1], 1
	s_add_u32 s2, s14, s0
	s_load_dwordx2 s[8:9], s[4:5], 0x30
	s_load_dword s14, s[4:5], 0x44
	s_addc_u32 s3, s15, s1
	s_waitcnt lgkmcnt(0)
	v_cmp_gt_u32_e32 vcc, s13, v1
	v_lshlrev_b32_e32 v19, 4, v0
	v_mov_b32_e32 v4, 0
	v_mov_b32_e32 v5, 0
	;; [unrolled: 1-line block ×8, first 2 shown]
	s_and_saveexec_b64 s[0:1], vcc
	s_cbranch_execz .LBB19_2
; %bb.1:
	global_load_dwordx4 v[12:15], v19, s[2:3]
	s_waitcnt vmcnt(0)
	v_cvt_f32_f16_e32 v10, v12
	v_cvt_f32_f16_sdwa v11, v12 dst_sel:DWORD dst_unused:UNUSED_PAD src0_sel:WORD_1
	v_cvt_f32_f16_e32 v8, v13
	v_cvt_f32_f16_sdwa v9, v13 dst_sel:DWORD dst_unused:UNUSED_PAD src0_sel:WORD_1
	;; [unrolled: 2-line block ×4, first 2 shown]
.LBB19_2:
	s_or_b64 exec, exec, s[0:1]
	s_and_b32 s0, 0xffff, s14
	v_add_u32_e32 v1, s0, v0
	v_lshlrev_b32_e32 v2, 3, v1
	v_cmp_gt_u32_e64 s[0:1], s13, v2
	v_lshlrev_b32_e32 v18, 4, v1
	v_mov_b32_e32 v15, 0
	v_mov_b32_e32 v13, 0
	;; [unrolled: 1-line block ×7, first 2 shown]
	s_and_saveexec_b64 s[4:5], s[0:1]
	s_cbranch_execz .LBB19_4
; %bb.3:
	global_load_dwordx4 v[20:23], v18, s[2:3]
	s_waitcnt vmcnt(0)
	v_cvt_f32_f16_e32 v12, v20
	v_cvt_f32_f16_sdwa v16, v20 dst_sel:DWORD dst_unused:UNUSED_PAD src0_sel:WORD_1
	v_cvt_f32_f16_e32 v2, v21
	v_cvt_f32_f16_sdwa v14, v21 dst_sel:DWORD dst_unused:UNUSED_PAD src0_sel:WORD_1
	;; [unrolled: 2-line block ×4, first 2 shown]
.LBB19_4:
	s_or_b64 exec, exec, s[4:5]
	v_mov_b32_e32 v20, v11
	v_pk_add_f32 v[22:23], v[20:21], v[10:11] op_sel_hi:[0,1]
	v_pk_add_f32 v[10:11], v[10:11], v[20:21] op_sel_hi:[1,0] neg_lo:[0,1] neg_hi:[0,1]
	v_mov_b32_e32 v20, v9
	v_pk_add_f32 v[24:25], v[20:21], v[8:9] op_sel_hi:[0,1]
	v_pk_add_f32 v[8:9], v[8:9], v[20:21] op_sel_hi:[1,0] neg_lo:[0,1] neg_hi:[0,1]
	;; [unrolled: 3-line block ×4, first 2 shown]
	v_pk_add_f32 v[20:21], v[24:25], v[22:23]
	v_pk_add_f32 v[22:23], v[22:23], v[24:25] neg_lo:[0,1] neg_hi:[0,1]
	v_pk_add_f32 v[24:25], v[8:9], v[10:11]
	v_pk_add_f32 v[8:9], v[10:11], v[8:9] neg_lo:[0,1] neg_hi:[0,1]
	;; [unrolled: 2-line block ×3, first 2 shown]
	v_pk_add_f32 v[28:29], v[16:17], v[12:13]
	v_pk_add_f32 v[30:31], v[14:15], v[2:3]
	;; [unrolled: 1-line block ×3, first 2 shown]
	v_pk_add_f32 v[28:29], v[28:29], v[30:31] neg_lo:[0,1] neg_hi:[0,1]
	v_pk_add_f32 v[30:31], v[4:5], v[6:7]
	v_pk_add_f32 v[4:5], v[6:7], v[4:5] neg_lo:[0,1] neg_hi:[0,1]
	v_pk_add_f32 v[6:7], v[12:13], v[16:17] neg_lo:[0,1] neg_hi:[0,1]
	;; [unrolled: 1-line block ×3, first 2 shown]
	v_pk_add_f32 v[12:13], v[2:3], v[6:7]
	v_pk_add_f32 v[2:3], v[6:7], v[2:3] neg_lo:[0,1] neg_hi:[0,1]
	v_pk_add_f32 v[6:7], v[10:11], v[20:21]
	v_pk_add_f32 v[10:11], v[20:21], v[10:11] neg_lo:[0,1] neg_hi:[0,1]
	v_mov_b32_e32 v14, v33
	v_pk_add_f32 v[20:21], v[30:31], v[24:25]
	v_pk_add_f32 v[24:25], v[24:25], v[30:31] neg_lo:[0,1] neg_hi:[0,1]
	v_mov_b32_e32 v30, v13
	v_pk_add_f32 v[16:17], v[14:15], v[32:33]
	v_pk_add_f32 v[14:15], v[32:33], v[14:15] neg_lo:[0,1] neg_hi:[0,1]
	v_pk_add_f32 v[32:33], v[30:31], v[12:13]
	v_pk_add_f32 v[12:13], v[12:13], v[30:31] neg_lo:[0,1] neg_hi:[0,1]
	;; [unrolled: 2-line block ×3, first 2 shown]
	v_mov_b32_e32 v26, v29
	v_pk_add_f32 v[34:35], v[26:27], v[28:29]
	v_pk_add_f32 v[26:27], v[28:29], v[26:27] neg_lo:[0,1] neg_hi:[0,1]
	v_pk_add_f32 v[28:29], v[4:5], v[8:9]
	v_pk_add_f32 v[4:5], v[8:9], v[4:5] neg_lo:[0,1] neg_hi:[0,1]
	v_mov_b32_e32 v8, v3
	v_mbcnt_lo_u32_b32 v1, -1, 0
	v_pk_add_f32 v[36:37], v[8:9], v[2:3]
	v_pk_add_f32 v[2:3], v[2:3], v[8:9] neg_lo:[0,1] neg_hi:[0,1]
	v_mbcnt_hi_u32_b32 v1, -1, v1
	v_and_b32_e32 v3, 64, v1
	v_add_u32_e32 v37, 64, v3
	v_xor_b32_e32 v3, 1, v1
	v_cmp_lt_i32_e64 s[2:3], v3, v37
	v_cndmask_b32_e64 v3, v1, v3, s[2:3]
	v_lshlrev_b32_e32 v3, 2, v3
	ds_bpermute_b32 v5, v3, v6
	v_and_b32_e32 v7, 1, v0
	v_cmp_eq_u32_e64 s[2:3], 0, v7
	v_cndmask_b32_e64 v6, -v6, v6, s[2:3]
	ds_bpermute_b32 v8, v3, v20
	s_waitcnt lgkmcnt(1)
	v_add_f32_e32 v5, v6, v5
	ds_bpermute_b32 v6, v3, v30
	v_cndmask_b32_e64 v7, -v20, v20, s[2:3]
	v_cndmask_b32_e64 v9, -v30, v30, s[2:3]
	s_waitcnt lgkmcnt(1)
	v_add_f32_e32 v7, v7, v8
	ds_bpermute_b32 v8, v3, v28
	s_waitcnt lgkmcnt(1)
	v_add_f32_e32 v6, v9, v6
	ds_bpermute_b32 v9, v3, v10
	v_cndmask_b32_e64 v11, -v28, v28, s[2:3]
	v_cndmask_b32_e64 v10, -v10, v10, s[2:3]
	s_waitcnt lgkmcnt(1)
	v_add_f32_e32 v8, v11, v8
	;; [unrolled: 8-line block ×6, first 2 shown]
	ds_bpermute_b32 v21, v3, v12
	s_waitcnt lgkmcnt(1)
	v_add_f32_e32 v14, v14, v20
	ds_bpermute_b32 v20, v3, v26
	ds_bpermute_b32 v3, v3, v2
	v_cndmask_b32_e64 v2, -v2, v2, s[2:3]
	v_cndmask_b32_e64 v12, -v12, v12, s[2:3]
	s_waitcnt lgkmcnt(2)
	v_add_f32_e32 v12, v12, v21
	v_cndmask_b32_e64 v21, -v26, v26, s[2:3]
	s_waitcnt lgkmcnt(0)
	v_add_f32_e32 v2, v2, v3
	v_xor_b32_e32 v3, 2, v1
	v_cmp_lt_i32_e64 s[2:3], v3, v37
	v_cndmask_b32_e64 v3, v1, v3, s[2:3]
	v_lshlrev_b32_e32 v3, 2, v3
	v_add_f32_e32 v20, v21, v20
	ds_bpermute_b32 v21, v3, v5
	v_and_b32_e32 v22, 2, v0
	v_cmp_eq_u32_e64 s[2:3], 0, v22
	v_cndmask_b32_e64 v5, -v5, v5, s[2:3]
	ds_bpermute_b32 v22, v3, v8
	s_waitcnt lgkmcnt(1)
	v_add_f32_e32 v5, v5, v21
	ds_bpermute_b32 v21, v3, v6
	v_cndmask_b32_e64 v6, -v6, v6, s[2:3]
	v_cndmask_b32_e64 v8, -v8, v8, s[2:3]
	s_waitcnt lgkmcnt(1)
	v_add_f32_e32 v8, v8, v22
	ds_bpermute_b32 v22, v3, v11
	s_waitcnt lgkmcnt(1)
	v_add_f32_e32 v6, v6, v21
	ds_bpermute_b32 v21, v3, v9
	v_cndmask_b32_e64 v9, -v9, v9, s[2:3]
	v_cndmask_b32_e64 v11, -v11, v11, s[2:3]
	s_waitcnt lgkmcnt(1)
	v_add_f32_e32 v11, v11, v22
	;; [unrolled: 8-line block ×4, first 2 shown]
	ds_bpermute_b32 v22, v3, v17
	s_waitcnt lgkmcnt(1)
	v_add_f32_e32 v15, v15, v21
	ds_bpermute_b32 v21, v3, v16
	v_cndmask_b32_e64 v16, -v16, v16, s[2:3]
	v_cndmask_b32_e64 v17, -v17, v17, s[2:3]
	ds_bpermute_b32 v23, v3, v7
	s_waitcnt lgkmcnt(2)
	v_add_f32_e32 v17, v17, v22
	s_waitcnt lgkmcnt(1)
	v_add_f32_e32 v16, v16, v21
	ds_bpermute_b32 v21, v3, v14
	v_cndmask_b32_e64 v14, -v14, v14, s[2:3]
	ds_bpermute_b32 v22, v3, v12
	v_cndmask_b32_e64 v7, -v7, v7, s[2:3]
	v_cndmask_b32_e64 v12, -v12, v12, s[2:3]
	s_waitcnt lgkmcnt(1)
	v_add_f32_e32 v14, v14, v21
	ds_bpermute_b32 v21, v3, v20
	ds_bpermute_b32 v3, v3, v2
	v_cndmask_b32_e64 v2, -v2, v2, s[2:3]
	v_cndmask_b32_e64 v20, -v20, v20, s[2:3]
	s_waitcnt lgkmcnt(2)
	v_add_f32_e32 v12, v12, v22
	s_waitcnt lgkmcnt(1)
	v_add_f32_e32 v20, v20, v21
	;; [unrolled: 2-line block ×3, first 2 shown]
	v_xor_b32_e32 v3, 4, v1
	v_cmp_lt_i32_e64 s[2:3], v3, v37
	v_cndmask_b32_e64 v3, v1, v3, s[2:3]
	v_lshlrev_b32_e32 v3, 2, v3
	ds_bpermute_b32 v21, v3, v5
	v_and_b32_e32 v22, 4, v0
	v_cmp_eq_u32_e64 s[2:3], 0, v22
	v_cndmask_b32_e64 v5, -v5, v5, s[2:3]
	v_add_f32_e32 v7, v7, v23
	s_waitcnt lgkmcnt(0)
	v_add_f32_e32 v5, v5, v21
	ds_bpermute_b32 v21, v3, v6
	ds_bpermute_b32 v22, v3, v8
	v_cndmask_b32_e64 v6, -v6, v6, s[2:3]
	ds_bpermute_b32 v23, v3, v7
	v_cndmask_b32_e64 v8, -v8, v8, s[2:3]
	s_waitcnt lgkmcnt(2)
	v_add_f32_e32 v21, v6, v21
	ds_bpermute_b32 v6, v3, v9
	v_cndmask_b32_e64 v7, -v7, v7, s[2:3]
	s_waitcnt lgkmcnt(2)
	v_add_f32_e32 v22, v8, v22
	;; [unrolled: 4-line block ×3, first 2 shown]
	s_waitcnt lgkmcnt(1)
	v_add_f32_e32 v23, v9, v6
	ds_bpermute_b32 v6, v3, v10
	v_cndmask_b32_e64 v9, -v11, v11, s[2:3]
	s_waitcnt lgkmcnt(1)
	v_add_f32_e32 v24, v9, v8
	ds_bpermute_b32 v8, v3, v4
	v_cndmask_b32_e64 v9, -v10, v10, s[2:3]
	;; [unrolled: 4-line block ×7, first 2 shown]
	s_waitcnt lgkmcnt(1)
	v_add_f32_e32 v30, v8, v4
	v_cndmask_b32_e64 v4, -v14, v14, s[2:3]
	ds_bpermute_b32 v8, v3, v12
	s_waitcnt lgkmcnt(1)
	v_add_f32_e32 v31, v4, v6
	ds_bpermute_b32 v4, v3, v20
	ds_bpermute_b32 v3, v3, v2
	v_cndmask_b32_e64 v2, -v2, v2, s[2:3]
	v_cndmask_b32_e64 v6, -v12, v12, s[2:3]
	s_waitcnt lgkmcnt(2)
	v_add_f32_e32 v32, v6, v8
	v_cndmask_b32_e64 v6, -v20, v20, s[2:3]
	s_waitcnt lgkmcnt(0)
	v_add_f32_e32 v35, v2, v3
	v_xor_b32_e32 v2, 8, v1
	v_cmp_lt_i32_e64 s[2:3], v2, v37
	v_cndmask_b32_e64 v2, v1, v2, s[2:3]
	v_and_b32_e32 v3, 8, v0
	v_lshlrev_b32_e32 v36, 2, v2
	ds_bpermute_b32 v2, v36, v5
	v_cmp_eq_u32_e64 s[2:3], 0, v3
	ds_bpermute_b32 v3, v36, v7
	v_add_f32_e32 v33, v6, v4
	v_cndmask_b32_e64 v4, -v5, v5, s[2:3]
	v_cndmask_b32_e64 v5, -v7, v7, s[2:3]
	ds_bpermute_b32 v6, v36, v21
	ds_bpermute_b32 v7, v36, v22
	v_cndmask_b32_e64 v8, -v21, v21, s[2:3]
	v_cndmask_b32_e64 v9, -v22, v22, s[2:3]
	ds_bpermute_b32 v10, v36, v23
	v_cndmask_b32_e64 v12, -v23, v23, s[2:3]
	ds_bpermute_b32 v11, v36, v24
	;; [unrolled: 2-line block ×12, first 2 shown]
	v_and_b32_e32 v36, 16, v0
	v_xor_b32_e32 v0, 16, v1
	v_cndmask_b32_e64 v35, -v35, v35, s[2:3]
	v_cmp_lt_i32_e64 s[2:3], v0, v37
	v_cndmask_b32_e64 v0, v1, v0, s[2:3]
	s_mul_i32 s2, s10, s7
	s_mul_hi_u32 s3, s10, s6
	v_lshlrev_b32_e32 v37, 2, v0
	s_add_i32 s2, s3, s2
	s_mul_i32 s3, s11, s6
	s_waitcnt lgkmcnt(14)
	v_pk_add_f32 v[2:3], v[4:5], v[2:3]
	s_add_i32 s3, s2, s3
	s_mul_i32 s2, s10, s6
	s_waitcnt lgkmcnt(12)
	v_pk_add_f32 v[0:1], v[8:9], v[6:7]
	ds_bpermute_b32 v8, v37, v2
	ds_bpermute_b32 v9, v37, v3
	s_lshl_b64 s[2:3], s[2:3], 1
	s_waitcnt lgkmcnt(8)
	v_pk_add_f32 v[6:7], v[22:23], v[20:21]
	ds_bpermute_b32 v20, v37, v0
	ds_bpermute_b32 v21, v37, v1
	s_add_u32 s4, s8, s2
	s_addc_u32 s5, s9, s3
	v_cmp_eq_u32_e64 s[2:3], 0, v36
	v_cndmask_b32_e64 v3, -v3, v3, s[2:3]
	v_cndmask_b32_e64 v2, -v2, v2, s[2:3]
	s_waitcnt lgkmcnt(8)
	v_pk_add_f32 v[4:5], v[26:27], v[24:25]
	v_cndmask_b32_e64 v1, -v1, v1, s[2:3]
	v_cndmask_b32_e64 v0, -v0, v0, s[2:3]
	s_waitcnt lgkmcnt(2)
	v_pk_add_f32 v[2:3], v[2:3], v[8:9]
	ds_bpermute_b32 v8, v37, v6
	ds_bpermute_b32 v9, v37, v7
	s_waitcnt lgkmcnt(2)
	v_pk_add_f32 v[0:1], v[0:1], v[20:21]
	ds_bpermute_b32 v20, v37, v4
	ds_bpermute_b32 v21, v37, v5
	v_cndmask_b32_e64 v7, -v7, v7, s[2:3]
	v_cndmask_b32_e64 v6, -v6, v6, s[2:3]
	;; [unrolled: 1-line block ×4, first 2 shown]
	s_waitcnt lgkmcnt(2)
	v_pk_add_f32 v[6:7], v[6:7], v[8:9]
	v_pk_add_f32 v[8:9], v[16:17], v[14:15]
	;; [unrolled: 1-line block ×3, first 2 shown]
	s_waitcnt lgkmcnt(0)
	v_pk_add_f32 v[4:5], v[4:5], v[20:21]
	ds_bpermute_b32 v16, v37, v10
	ds_bpermute_b32 v17, v37, v11
	;; [unrolled: 1-line block ×4, first 2 shown]
	v_pk_add_f32 v[12:13], v[34:35], v[32:33]
	v_pk_add_f32 v[14:15], v[30:31], v[28:29]
	v_cndmask_b32_e64 v11, -v11, v11, s[2:3]
	v_cndmask_b32_e64 v10, -v10, v10, s[2:3]
	v_cndmask_b32_e64 v9, -v9, v9, s[2:3]
	v_cndmask_b32_e64 v8, -v8, v8, s[2:3]
	s_waitcnt lgkmcnt(0)
	v_pk_add_f32 v[8:9], v[8:9], v[20:21]
	v_pk_add_f32 v[10:11], v[10:11], v[16:17]
	ds_bpermute_b32 v16, v37, v14
	ds_bpermute_b32 v17, v37, v15
	;; [unrolled: 1-line block ×4, first 2 shown]
	v_cndmask_b32_e64 v15, -v15, v15, s[2:3]
	v_cndmask_b32_e64 v14, -v14, v14, s[2:3]
	;; [unrolled: 1-line block ×4, first 2 shown]
	s_mov_b32 s13, s12
	s_mov_b32 s6, s12
	;; [unrolled: 1-line block ×3, first 2 shown]
	s_waitcnt lgkmcnt(0)
	v_pk_add_f32 v[12:13], v[12:13], v[20:21]
	v_pk_add_f32 v[14:15], v[14:15], v[16:17]
	s_and_saveexec_b64 s[2:3], vcc
	s_cbranch_execnz .LBB19_7
; %bb.5:
	s_or_b64 exec, exec, s[2:3]
	s_and_saveexec_b64 s[2:3], s[0:1]
	s_cbranch_execnz .LBB19_8
.LBB19_6:
	s_endpgm
.LBB19_7:
	v_pk_add_f32 v[16:17], v[0:1], v[4:5]
	v_pk_mul_f32 v[16:17], s[6:7], v[16:17]
	v_pk_add_f32 v[20:21], v[2:3], v[6:7]
	v_cvt_f16_f32_e32 v24, v17
	v_cvt_f16_f32_e32 v25, v16
	v_pk_add_f32 v[16:17], v[8:9], v[12:13]
	v_pk_add_f32 v[22:23], v[10:11], v[14:15]
	v_pk_mul_f32 v[20:21], s[12:13], v[20:21]
	v_pk_mul_f32 v[16:17], s[6:7], v[16:17]
	;; [unrolled: 1-line block ×3, first 2 shown]
	v_cvt_f16_f32_e32 v26, v21
	v_cvt_f16_f32_e32 v17, v17
	;; [unrolled: 1-line block ×6, first 2 shown]
	v_pack_b32_f16 v23, v16, v17
	v_pack_b32_f16 v21, v25, v24
	;; [unrolled: 1-line block ×4, first 2 shown]
	global_store_dwordx4 v19, v[20:23], s[4:5]
	s_or_b64 exec, exec, s[2:3]
	s_and_saveexec_b64 s[2:3], s[0:1]
	s_cbranch_execz .LBB19_6
.LBB19_8:
	v_sub_f32_e32 v3, v3, v7
	v_sub_f32_e32 v2, v2, v6
	v_sub_f32_e32 v1, v1, v5
	v_sub_f32_e32 v0, v0, v4
	v_sub_f32_e32 v5, v11, v15
	v_sub_f32_e32 v4, v10, v14
	v_sub_f32_e32 v7, v9, v13
	v_sub_f32_e32 v6, v8, v12
	v_pk_mul_f32 v[0:1], s[6:7], v[0:1]
	v_pk_mul_f32 v[2:3], s[12:13], v[2:3]
	;; [unrolled: 1-line block ×4, first 2 shown]
	v_cvt_f16_f32_e32 v16, v3
	v_cvt_f16_f32_e32 v1, v1
	;; [unrolled: 1-line block ×8, first 2 shown]
	v_pack_b32_f16 v3, v6, v3
	v_pack_b32_f16 v2, v4, v5
	;; [unrolled: 1-line block ×4, first 2 shown]
	global_store_dwordx4 v18, v[0:3], s[4:5]
	s_endpgm
	.section	.rodata,"a",@progbits
	.p2align	6, 0x0
	.amdhsa_kernel _Z30fast_hadamard_transform_kernelI37fast_hadamard_transform_kernel_traitsILi32ELi9E6__halfEEv18HadamardParamsBase
		.amdhsa_group_segment_fixed_size 0
		.amdhsa_private_segment_fixed_size 0
		.amdhsa_kernarg_size 312
		.amdhsa_user_sgpr_count 6
		.amdhsa_user_sgpr_private_segment_buffer 1
		.amdhsa_user_sgpr_dispatch_ptr 0
		.amdhsa_user_sgpr_queue_ptr 0
		.amdhsa_user_sgpr_kernarg_segment_ptr 1
		.amdhsa_user_sgpr_dispatch_id 0
		.amdhsa_user_sgpr_flat_scratch_init 0
		.amdhsa_user_sgpr_kernarg_preload_length 0
		.amdhsa_user_sgpr_kernarg_preload_offset 0
		.amdhsa_user_sgpr_private_segment_size 0
		.amdhsa_uses_dynamic_stack 0
		.amdhsa_system_sgpr_private_segment_wavefront_offset 0
		.amdhsa_system_sgpr_workgroup_id_x 1
		.amdhsa_system_sgpr_workgroup_id_y 0
		.amdhsa_system_sgpr_workgroup_id_z 0
		.amdhsa_system_sgpr_workgroup_info 0
		.amdhsa_system_vgpr_workitem_id 0
		.amdhsa_next_free_vgpr 38
		.amdhsa_next_free_sgpr 16
		.amdhsa_accum_offset 40
		.amdhsa_reserve_vcc 1
		.amdhsa_reserve_flat_scratch 0
		.amdhsa_float_round_mode_32 0
		.amdhsa_float_round_mode_16_64 0
		.amdhsa_float_denorm_mode_32 3
		.amdhsa_float_denorm_mode_16_64 3
		.amdhsa_dx10_clamp 1
		.amdhsa_ieee_mode 1
		.amdhsa_fp16_overflow 0
		.amdhsa_tg_split 0
		.amdhsa_exception_fp_ieee_invalid_op 0
		.amdhsa_exception_fp_denorm_src 0
		.amdhsa_exception_fp_ieee_div_zero 0
		.amdhsa_exception_fp_ieee_overflow 0
		.amdhsa_exception_fp_ieee_underflow 0
		.amdhsa_exception_fp_ieee_inexact 0
		.amdhsa_exception_int_div_zero 0
	.end_amdhsa_kernel
	.section	.text._Z30fast_hadamard_transform_kernelI37fast_hadamard_transform_kernel_traitsILi32ELi9E6__halfEEv18HadamardParamsBase,"axG",@progbits,_Z30fast_hadamard_transform_kernelI37fast_hadamard_transform_kernel_traitsILi32ELi9E6__halfEEv18HadamardParamsBase,comdat
.Lfunc_end19:
	.size	_Z30fast_hadamard_transform_kernelI37fast_hadamard_transform_kernel_traitsILi32ELi9E6__halfEEv18HadamardParamsBase, .Lfunc_end19-_Z30fast_hadamard_transform_kernelI37fast_hadamard_transform_kernel_traitsILi32ELi9E6__halfEEv18HadamardParamsBase
                                        ; -- End function
	.section	.AMDGPU.csdata,"",@progbits
; Kernel info:
; codeLenInByte = 3064
; NumSgprs: 20
; NumVgprs: 38
; NumAgprs: 0
; TotalNumVgprs: 38
; ScratchSize: 0
; MemoryBound: 0
; FloatMode: 240
; IeeeMode: 1
; LDSByteSize: 0 bytes/workgroup (compile time only)
; SGPRBlocks: 2
; VGPRBlocks: 4
; NumSGPRsForWavesPerEU: 20
; NumVGPRsForWavesPerEU: 38
; AccumOffset: 40
; Occupancy: 8
; WaveLimiterHint : 0
; COMPUTE_PGM_RSRC2:SCRATCH_EN: 0
; COMPUTE_PGM_RSRC2:USER_SGPR: 6
; COMPUTE_PGM_RSRC2:TRAP_HANDLER: 0
; COMPUTE_PGM_RSRC2:TGID_X_EN: 1
; COMPUTE_PGM_RSRC2:TGID_Y_EN: 0
; COMPUTE_PGM_RSRC2:TGID_Z_EN: 0
; COMPUTE_PGM_RSRC2:TIDIG_COMP_CNT: 0
; COMPUTE_PGM_RSRC3_GFX90A:ACCUM_OFFSET: 9
; COMPUTE_PGM_RSRC3_GFX90A:TG_SPLIT: 0
	.section	.text._Z30fast_hadamard_transform_kernelI37fast_hadamard_transform_kernel_traitsILi128ELi10E6__halfEEv18HadamardParamsBase,"axG",@progbits,_Z30fast_hadamard_transform_kernelI37fast_hadamard_transform_kernel_traitsILi128ELi10E6__halfEEv18HadamardParamsBase,comdat
	.protected	_Z30fast_hadamard_transform_kernelI37fast_hadamard_transform_kernel_traitsILi128ELi10E6__halfEEv18HadamardParamsBase ; -- Begin function _Z30fast_hadamard_transform_kernelI37fast_hadamard_transform_kernel_traitsILi128ELi10E6__halfEEv18HadamardParamsBase
	.globl	_Z30fast_hadamard_transform_kernelI37fast_hadamard_transform_kernel_traitsILi128ELi10E6__halfEEv18HadamardParamsBase
	.p2align	8
	.type	_Z30fast_hadamard_transform_kernelI37fast_hadamard_transform_kernel_traitsILi128ELi10E6__halfEEv18HadamardParamsBase,@function
_Z30fast_hadamard_transform_kernelI37fast_hadamard_transform_kernel_traitsILi128ELi10E6__halfEEv18HadamardParamsBase: ; @_Z30fast_hadamard_transform_kernelI37fast_hadamard_transform_kernel_traitsILi128ELi10E6__halfEEv18HadamardParamsBase
; %bb.0:
	s_load_dword s0, s[4:5], 0x4
	s_load_dwordx4 s[12:15], s[4:5], 0x20
	v_lshlrev_b32_e32 v1, 3, v0
	v_mov_b32_e32 v2, 0
	s_ashr_i32 s7, s6, 31
	s_waitcnt lgkmcnt(0)
	v_cmp_gt_u32_e32 vcc, s0, v1
	v_lshlrev_b32_e32 v1, 4, v0
	v_mov_b32_e32 v6, 0
	v_mov_b32_e32 v4, 0
	;; [unrolled: 1-line block ×7, first 2 shown]
	s_and_saveexec_b64 s[0:1], vcc
	s_cbranch_execz .LBB20_2
; %bb.1:
	s_load_dwordx2 s[2:3], s[4:5], 0x10
	s_waitcnt lgkmcnt(0)
	s_mul_i32 s8, s2, s7
	s_mul_hi_u32 s9, s2, s6
	s_mul_i32 s3, s3, s6
	s_add_i32 s8, s9, s8
	s_mul_i32 s2, s2, s6
	s_add_i32 s3, s8, s3
	s_lshl_b64 s[2:3], s[2:3], 1
	s_add_u32 s2, s14, s2
	s_addc_u32 s3, s15, s3
	global_load_dwordx4 v[10:13], v1, s[2:3]
	s_waitcnt vmcnt(0)
	v_cvt_f32_f16_e32 v5, v10
	v_cvt_f32_f16_sdwa v9, v10 dst_sel:DWORD dst_unused:UNUSED_PAD src0_sel:WORD_1
	v_cvt_f32_f16_e32 v3, v11
	v_cvt_f32_f16_sdwa v7, v11 dst_sel:DWORD dst_unused:UNUSED_PAD src0_sel:WORD_1
	;; [unrolled: 2-line block ×4, first 2 shown]
.LBB20_2:
	s_or_b64 exec, exec, s[0:1]
	v_pk_add_f32 v[10:11], v[8:9], v[4:5]
	v_pk_add_f32 v[12:13], v[6:7], v[2:3]
	v_pk_add_f32 v[4:5], v[4:5], v[8:9] neg_lo:[0,1] neg_hi:[0,1]
	v_pk_add_f32 v[2:3], v[2:3], v[6:7] neg_lo:[0,1] neg_hi:[0,1]
	v_pk_add_f32 v[14:15], v[12:13], v[10:11]
	v_pk_add_f32 v[6:7], v[2:3], v[4:5]
	v_pk_add_f32 v[10:11], v[10:11], v[12:13] neg_lo:[0,1] neg_hi:[0,1]
	v_pk_add_f32 v[2:3], v[4:5], v[2:3] neg_lo:[0,1] neg_hi:[0,1]
	v_mov_b32_e32 v4, v15
	v_mov_b32_e32 v12, v7
	v_pk_add_f32 v[8:9], v[14:15], v[4:5]
	v_pk_add_f32 v[4:5], v[4:5], v[14:15] neg_lo:[0,1] neg_hi:[0,1]
	v_pk_add_f32 v[14:15], v[6:7], v[12:13]
	v_pk_add_f32 v[6:7], v[12:13], v[6:7] neg_lo:[0,1] neg_hi:[0,1]
	v_mov_b32_e32 v12, v11
	v_pk_add_f32 v[16:17], v[10:11], v[12:13]
	v_pk_add_f32 v[10:11], v[12:13], v[10:11] neg_lo:[0,1] neg_hi:[0,1]
	v_mov_b32_e32 v12, v3
	v_pk_add_f32 v[18:19], v[2:3], v[12:13]
	v_pk_add_f32 v[2:3], v[12:13], v[2:3] neg_lo:[0,1] neg_hi:[0,1]
	v_mbcnt_lo_u32_b32 v3, -1, 0
	v_mbcnt_hi_u32_b32 v19, -1, v3
	v_and_b32_e32 v3, 64, v19
	v_add_u32_e32 v20, 64, v3
	v_xor_b32_e32 v3, 1, v19
	v_cmp_lt_i32_e64 s[0:1], v3, v20
	v_cndmask_b32_e64 v3, v19, v3, s[0:1]
	v_lshlrev_b32_e32 v21, 2, v3
	ds_bpermute_b32 v3, v21, v8
	v_and_b32_e32 v22, 1, v0
	v_cmp_eq_u32_e64 s[0:1], 0, v22
	v_cndmask_b32_e64 v7, -v8, v8, s[0:1]
	ds_bpermute_b32 v5, v21, v14
	s_waitcnt lgkmcnt(1)
	v_add_f32_e32 v3, v7, v3
	ds_bpermute_b32 v7, v21, v16
	v_cndmask_b32_e64 v9, -v16, v16, s[0:1]
	v_cndmask_b32_e64 v8, -v14, v14, s[0:1]
	s_waitcnt lgkmcnt(1)
	v_add_f32_e32 v5, v8, v5
	ds_bpermute_b32 v8, v21, v18
	s_waitcnt lgkmcnt(1)
	v_add_f32_e32 v7, v9, v7
	ds_bpermute_b32 v9, v21, v4
	v_cndmask_b32_e64 v4, -v4, v4, s[0:1]
	v_cndmask_b32_e64 v11, -v18, v18, s[0:1]
	s_waitcnt lgkmcnt(1)
	v_add_f32_e32 v8, v11, v8
	ds_bpermute_b32 v11, v21, v6
	s_waitcnt lgkmcnt(1)
	v_add_f32_e32 v4, v4, v9
	ds_bpermute_b32 v9, v21, v10
	v_cndmask_b32_e64 v10, -v10, v10, s[0:1]
	ds_bpermute_b32 v12, v21, v2
	v_cndmask_b32_e64 v6, -v6, v6, s[0:1]
	s_waitcnt lgkmcnt(2)
	v_add_f32_e32 v6, v6, v11
	s_waitcnt lgkmcnt(1)
	v_add_f32_e32 v9, v10, v9
	v_xor_b32_e32 v10, 2, v19
	v_cmp_lt_i32_e64 s[2:3], v10, v20
	v_cndmask_b32_e64 v10, v19, v10, s[2:3]
	v_lshlrev_b32_e32 v10, 2, v10
	ds_bpermute_b32 v11, v10, v3
	v_cndmask_b32_e64 v2, -v2, v2, s[0:1]
	s_waitcnt lgkmcnt(1)
	v_add_f32_e32 v2, v2, v12
	v_and_b32_e32 v12, 2, v0
	v_cmp_eq_u32_e64 s[2:3], 0, v12
	v_cndmask_b32_e64 v3, -v3, v3, s[2:3]
	s_waitcnt lgkmcnt(0)
	v_add_f32_e32 v3, v3, v11
	ds_bpermute_b32 v11, v10, v7
	v_cndmask_b32_e64 v7, -v7, v7, s[2:3]
	ds_bpermute_b32 v12, v10, v8
	v_cndmask_b32_e64 v8, -v8, v8, s[2:3]
	ds_bpermute_b32 v13, v10, v5
	s_waitcnt lgkmcnt(2)
	v_add_f32_e32 v7, v7, v11
	ds_bpermute_b32 v11, v10, v4
	v_cndmask_b32_e64 v4, -v4, v4, s[2:3]
	s_waitcnt lgkmcnt(2)
	v_add_f32_e32 v8, v8, v12
	ds_bpermute_b32 v12, v10, v6
	v_cndmask_b32_e64 v5, -v5, v5, s[2:3]
	s_waitcnt lgkmcnt(1)
	v_add_f32_e32 v4, v4, v11
	ds_bpermute_b32 v11, v10, v9
	ds_bpermute_b32 v10, v10, v2
	v_cndmask_b32_e64 v2, -v2, v2, s[2:3]
	v_cndmask_b32_e64 v6, -v6, v6, s[2:3]
	;; [unrolled: 1-line block ×3, first 2 shown]
	s_waitcnt lgkmcnt(1)
	v_add_f32_e32 v9, v9, v11
	s_waitcnt lgkmcnt(0)
	v_add_f32_e32 v2, v2, v10
	v_xor_b32_e32 v10, 4, v19
	v_cmp_lt_i32_e64 s[2:3], v10, v20
	v_cndmask_b32_e64 v10, v19, v10, s[2:3]
	v_lshlrev_b32_e32 v10, 2, v10
	ds_bpermute_b32 v11, v10, v3
	v_add_f32_e32 v6, v6, v12
	v_and_b32_e32 v12, 4, v0
	v_cmp_eq_u32_e64 s[2:3], 0, v12
	v_cndmask_b32_e64 v3, -v3, v3, s[2:3]
	s_waitcnt lgkmcnt(0)
	v_add_f32_e32 v3, v3, v11
	ds_bpermute_b32 v11, v10, v7
	v_cndmask_b32_e64 v7, -v7, v7, s[2:3]
	ds_bpermute_b32 v12, v10, v8
	v_add_f32_e32 v5, v5, v13
	v_cndmask_b32_e64 v8, -v8, v8, s[2:3]
	s_waitcnt lgkmcnt(1)
	v_add_f32_e32 v7, v7, v11
	ds_bpermute_b32 v11, v10, v4
	v_cndmask_b32_e64 v4, -v4, v4, s[2:3]
	ds_bpermute_b32 v13, v10, v5
	s_waitcnt lgkmcnt(2)
	v_add_f32_e32 v12, v8, v12
	ds_bpermute_b32 v8, v10, v6
	s_waitcnt lgkmcnt(2)
	v_add_f32_e32 v11, v4, v11
	ds_bpermute_b32 v4, v10, v9
	ds_bpermute_b32 v10, v10, v2
	v_cndmask_b32_e64 v2, -v2, v2, s[2:3]
	v_cndmask_b32_e64 v5, -v5, v5, s[2:3]
	;; [unrolled: 1-line block ×3, first 2 shown]
	s_waitcnt lgkmcnt(3)
	v_add_f32_e32 v5, v5, v13
	s_waitcnt lgkmcnt(0)
	v_add_f32_e32 v17, v2, v10
	v_xor_b32_e32 v2, 8, v19
	v_add_f32_e32 v13, v6, v8
	v_cndmask_b32_e64 v6, -v9, v9, s[2:3]
	v_cmp_lt_i32_e64 s[2:3], v2, v20
	v_add_f32_e32 v15, v6, v4
	v_and_b32_e32 v4, 8, v0
	v_cndmask_b32_e64 v2, v19, v2, s[2:3]
	v_lshlrev_b32_e32 v18, 2, v2
	v_cmp_eq_u32_e64 s[2:3], 0, v4
	ds_bpermute_b32 v2, v18, v3
	v_cndmask_b32_e64 v4, -v3, v3, s[2:3]
	ds_bpermute_b32 v3, v18, v5
	ds_bpermute_b32 v6, v18, v7
	v_cndmask_b32_e64 v8, -v7, v7, s[2:3]
	ds_bpermute_b32 v7, v18, v12
	v_cndmask_b32_e64 v9, -v12, v12, s[2:3]
	;; [unrolled: 2-line block ×3, first 2 shown]
	ds_bpermute_b32 v11, v18, v13
	ds_bpermute_b32 v14, v18, v15
	v_cndmask_b32_e64 v16, -v15, v15, s[2:3]
	ds_bpermute_b32 v15, v18, v17
	v_xor_b32_e32 v18, 16, v19
	v_cndmask_b32_e64 v5, -v5, v5, s[2:3]
	v_cndmask_b32_e64 v13, -v13, v13, s[2:3]
	;; [unrolled: 1-line block ×3, first 2 shown]
	v_cmp_lt_i32_e64 s[2:3], v18, v20
	v_cndmask_b32_e64 v18, v19, v18, s[2:3]
	v_lshlrev_b32_e32 v24, 2, v18
	v_xor_b32_e32 v18, 32, v19
	v_cmp_lt_i32_e64 s[2:3], v18, v20
	v_cndmask_b32_e64 v18, v19, v18, s[2:3]
	v_lshlrev_b32_e32 v20, 2, v18
	v_lshrrev_b32_e32 v18, 6, v0
	s_waitcnt lgkmcnt(6)
	v_pk_add_f32 v[4:5], v[4:5], v[2:3]
	s_waitcnt lgkmcnt(4)
	v_pk_add_f32 v[6:7], v[8:9], v[6:7]
	v_xor_b32_e32 v26, v18, v0
	ds_bpermute_b32 v18, v24, v4
	ds_bpermute_b32 v19, v24, v5
	ds_bpermute_b32 v8, v24, v6
	ds_bpermute_b32 v9, v24, v7
	v_and_b32_e32 v23, 16, v0
	v_cmp_eq_u32_e64 s[2:3], 0, v23
	v_cndmask_b32_e64 v5, -v5, v5, s[2:3]
	v_cndmask_b32_e64 v4, -v4, v4, s[2:3]
	v_cndmask_b32_e64 v7, -v7, v7, s[2:3]
	v_cndmask_b32_e64 v6, -v6, v6, s[2:3]
	s_waitcnt lgkmcnt(2)
	v_pk_add_f32 v[4:5], v[4:5], v[18:19]
	s_waitcnt lgkmcnt(0)
	v_pk_add_f32 v[6:7], v[6:7], v[8:9]
	ds_bpermute_b32 v18, v20, v4
	ds_bpermute_b32 v19, v20, v5
	;; [unrolled: 1-line block ×4, first 2 shown]
	v_and_b32_e32 v25, 32, v0
	v_cmp_eq_u32_e64 s[8:9], 0, v25
	v_cndmask_b32_e64 v5, -v5, v5, s[8:9]
	v_cndmask_b32_e64 v4, -v4, v4, s[8:9]
	;; [unrolled: 1-line block ×4, first 2 shown]
	v_pk_add_f32 v[10:11], v[12:13], v[10:11]
	v_lshl_add_u32 v2, v26, 4, 0
	s_waitcnt lgkmcnt(2)
	v_pk_add_f32 v[4:5], v[4:5], v[18:19]
	ds_bpermute_b32 v12, v24, v10
	ds_bpermute_b32 v13, v24, v11
	s_waitcnt lgkmcnt(2)
	v_pk_add_f32 v[6:7], v[6:7], v[8:9]
	v_pk_add_f32 v[8:9], v[16:17], v[14:15]
	s_waitcnt lgkmcnt(0)
	s_barrier
	ds_write_b128 v2, v[4:7]
	v_cndmask_b32_e64 v5, -v11, v11, s[2:3]
	v_cndmask_b32_e64 v4, -v10, v10, s[2:3]
	ds_bpermute_b32 v10, v24, v8
	ds_bpermute_b32 v11, v24, v9
	v_pk_add_f32 v[4:5], v[4:5], v[12:13]
	v_cndmask_b32_e64 v9, -v9, v9, s[2:3]
	v_cndmask_b32_e64 v8, -v8, v8, s[2:3]
	ds_bpermute_b32 v6, v20, v4
	ds_bpermute_b32 v7, v20, v5
	s_waitcnt lgkmcnt(2)
	v_pk_add_f32 v[8:9], v[8:9], v[10:11]
	ds_bpermute_b32 v10, v20, v8
	ds_bpermute_b32 v11, v20, v9
	v_lshrrev_b32_e32 v0, 1, v0
	v_cndmask_b32_e64 v5, -v5, v5, s[8:9]
	v_cndmask_b32_e64 v4, -v4, v4, s[8:9]
	v_lshl_or_b32 v0, v22, 6, v0
	s_waitcnt lgkmcnt(2)
	v_pk_add_f32 v[4:5], v[4:5], v[6:7]
	v_cndmask_b32_e64 v7, -v9, v9, s[8:9]
	v_cndmask_b32_e64 v6, -v8, v8, s[8:9]
	v_xor_b32_e32 v0, v0, v22
	s_waitcnt lgkmcnt(0)
	v_pk_add_f32 v[6:7], v[6:7], v[10:11]
	v_lshl_add_u32 v0, v0, 4, 0
	ds_write_b128 v2, v[4:7] offset:2048
	s_waitcnt lgkmcnt(0)
	s_barrier
	ds_read_b128 v[4:7], v0
	ds_read_b128 v[8:11], v0 offset:2048
	s_waitcnt lgkmcnt(0)
	s_barrier
	ds_bpermute_b32 v12, v21, v4
	ds_bpermute_b32 v13, v21, v5
	;; [unrolled: 1-line block ×8, first 2 shown]
	v_cndmask_b32_e64 v5, -v5, v5, s[0:1]
	v_cndmask_b32_e64 v4, -v4, v4, s[0:1]
	;; [unrolled: 1-line block ×4, first 2 shown]
	s_waitcnt lgkmcnt(4)
	v_pk_add_f32 v[6:7], v[6:7], v[14:15]
	v_pk_add_f32 v[4:5], v[4:5], v[12:13]
	ds_write_b128 v0, v[4:7]
	v_cndmask_b32_e64 v5, -v9, v9, s[0:1]
	v_cndmask_b32_e64 v4, -v8, v8, s[0:1]
	;; [unrolled: 1-line block ×4, first 2 shown]
	s_waitcnt lgkmcnt(1)
	v_pk_add_f32 v[6:7], v[6:7], v[18:19]
	v_pk_add_f32 v[4:5], v[4:5], v[16:17]
	ds_write_b128 v0, v[4:7] offset:2048
	s_waitcnt lgkmcnt(0)
	s_barrier
	s_and_saveexec_b64 s[0:1], vcc
	s_cbranch_execz .LBB20_4
; %bb.3:
	s_load_dwordx2 s[0:1], s[4:5], 0x18
	s_load_dwordx2 s[2:3], s[4:5], 0x30
	ds_read_b128 v[4:7], v2
	ds_read_b128 v[8:11], v2 offset:2048
	s_waitcnt lgkmcnt(0)
	s_mul_i32 s4, s0, s7
	s_mul_hi_u32 s5, s0, s6
	v_pk_mul_f32 v[2:3], s[12:13], v[4:5] op_sel_hi:[0,1]
	v_pk_mul_f32 v[4:5], s[12:13], v[6:7] op_sel_hi:[0,1]
	v_cvt_f16_f32_e32 v0, v5
	v_cvt_f16_f32_e32 v5, v3
	;; [unrolled: 1-line block ×3, first 2 shown]
	v_pk_mul_f32 v[2:3], s[12:13], v[8:9] op_sel_hi:[0,1]
	v_pk_mul_f32 v[6:7], s[12:13], v[10:11] op_sel_hi:[0,1]
	s_mul_i32 s1, s1, s6
	s_add_i32 s4, s5, s4
	v_cvt_f16_f32_e32 v3, v3
	v_cvt_f16_f32_e32 v2, v2
	;; [unrolled: 1-line block ×5, first 2 shown]
	s_mul_i32 s0, s0, s6
	s_add_i32 s1, s4, s1
	s_lshl_b64 s[0:1], s[0:1], 1
	s_add_u32 s0, s2, s0
	s_addc_u32 s1, s3, s1
	v_pack_b32_f16 v4, v2, v3
	v_pack_b32_f16 v2, v12, v5
	;; [unrolled: 1-line block ×4, first 2 shown]
	global_store_dwordx4 v1, v[2:5], s[0:1]
.LBB20_4:
	s_endpgm
	.section	.rodata,"a",@progbits
	.p2align	6, 0x0
	.amdhsa_kernel _Z30fast_hadamard_transform_kernelI37fast_hadamard_transform_kernel_traitsILi128ELi10E6__halfEEv18HadamardParamsBase
		.amdhsa_group_segment_fixed_size 0
		.amdhsa_private_segment_fixed_size 0
		.amdhsa_kernarg_size 56
		.amdhsa_user_sgpr_count 6
		.amdhsa_user_sgpr_private_segment_buffer 1
		.amdhsa_user_sgpr_dispatch_ptr 0
		.amdhsa_user_sgpr_queue_ptr 0
		.amdhsa_user_sgpr_kernarg_segment_ptr 1
		.amdhsa_user_sgpr_dispatch_id 0
		.amdhsa_user_sgpr_flat_scratch_init 0
		.amdhsa_user_sgpr_kernarg_preload_length 0
		.amdhsa_user_sgpr_kernarg_preload_offset 0
		.amdhsa_user_sgpr_private_segment_size 0
		.amdhsa_uses_dynamic_stack 0
		.amdhsa_system_sgpr_private_segment_wavefront_offset 0
		.amdhsa_system_sgpr_workgroup_id_x 1
		.amdhsa_system_sgpr_workgroup_id_y 0
		.amdhsa_system_sgpr_workgroup_id_z 0
		.amdhsa_system_sgpr_workgroup_info 0
		.amdhsa_system_vgpr_workitem_id 0
		.amdhsa_next_free_vgpr 27
		.amdhsa_next_free_sgpr 16
		.amdhsa_accum_offset 28
		.amdhsa_reserve_vcc 1
		.amdhsa_reserve_flat_scratch 0
		.amdhsa_float_round_mode_32 0
		.amdhsa_float_round_mode_16_64 0
		.amdhsa_float_denorm_mode_32 3
		.amdhsa_float_denorm_mode_16_64 3
		.amdhsa_dx10_clamp 1
		.amdhsa_ieee_mode 1
		.amdhsa_fp16_overflow 0
		.amdhsa_tg_split 0
		.amdhsa_exception_fp_ieee_invalid_op 0
		.amdhsa_exception_fp_denorm_src 0
		.amdhsa_exception_fp_ieee_div_zero 0
		.amdhsa_exception_fp_ieee_overflow 0
		.amdhsa_exception_fp_ieee_underflow 0
		.amdhsa_exception_fp_ieee_inexact 0
		.amdhsa_exception_int_div_zero 0
	.end_amdhsa_kernel
	.section	.text._Z30fast_hadamard_transform_kernelI37fast_hadamard_transform_kernel_traitsILi128ELi10E6__halfEEv18HadamardParamsBase,"axG",@progbits,_Z30fast_hadamard_transform_kernelI37fast_hadamard_transform_kernel_traitsILi128ELi10E6__halfEEv18HadamardParamsBase,comdat
.Lfunc_end20:
	.size	_Z30fast_hadamard_transform_kernelI37fast_hadamard_transform_kernel_traitsILi128ELi10E6__halfEEv18HadamardParamsBase, .Lfunc_end20-_Z30fast_hadamard_transform_kernelI37fast_hadamard_transform_kernel_traitsILi128ELi10E6__halfEEv18HadamardParamsBase
                                        ; -- End function
	.section	.AMDGPU.csdata,"",@progbits
; Kernel info:
; codeLenInByte = 2124
; NumSgprs: 20
; NumVgprs: 27
; NumAgprs: 0
; TotalNumVgprs: 27
; ScratchSize: 0
; MemoryBound: 0
; FloatMode: 240
; IeeeMode: 1
; LDSByteSize: 0 bytes/workgroup (compile time only)
; SGPRBlocks: 2
; VGPRBlocks: 3
; NumSGPRsForWavesPerEU: 20
; NumVGPRsForWavesPerEU: 27
; AccumOffset: 28
; Occupancy: 8
; WaveLimiterHint : 0
; COMPUTE_PGM_RSRC2:SCRATCH_EN: 0
; COMPUTE_PGM_RSRC2:USER_SGPR: 6
; COMPUTE_PGM_RSRC2:TRAP_HANDLER: 0
; COMPUTE_PGM_RSRC2:TGID_X_EN: 1
; COMPUTE_PGM_RSRC2:TGID_Y_EN: 0
; COMPUTE_PGM_RSRC2:TGID_Z_EN: 0
; COMPUTE_PGM_RSRC2:TIDIG_COMP_CNT: 0
; COMPUTE_PGM_RSRC3_GFX90A:ACCUM_OFFSET: 6
; COMPUTE_PGM_RSRC3_GFX90A:TG_SPLIT: 0
	.section	.text._Z30fast_hadamard_transform_kernelI37fast_hadamard_transform_kernel_traitsILi256ELi11E6__halfEEv18HadamardParamsBase,"axG",@progbits,_Z30fast_hadamard_transform_kernelI37fast_hadamard_transform_kernel_traitsILi256ELi11E6__halfEEv18HadamardParamsBase,comdat
	.protected	_Z30fast_hadamard_transform_kernelI37fast_hadamard_transform_kernel_traitsILi256ELi11E6__halfEEv18HadamardParamsBase ; -- Begin function _Z30fast_hadamard_transform_kernelI37fast_hadamard_transform_kernel_traitsILi256ELi11E6__halfEEv18HadamardParamsBase
	.globl	_Z30fast_hadamard_transform_kernelI37fast_hadamard_transform_kernel_traitsILi256ELi11E6__halfEEv18HadamardParamsBase
	.p2align	8
	.type	_Z30fast_hadamard_transform_kernelI37fast_hadamard_transform_kernel_traitsILi256ELi11E6__halfEEv18HadamardParamsBase,@function
_Z30fast_hadamard_transform_kernelI37fast_hadamard_transform_kernel_traitsILi256ELi11E6__halfEEv18HadamardParamsBase: ; @_Z30fast_hadamard_transform_kernelI37fast_hadamard_transform_kernel_traitsILi256ELi11E6__halfEEv18HadamardParamsBase
; %bb.0:
	s_load_dword s0, s[4:5], 0x4
	s_load_dwordx4 s[12:15], s[4:5], 0x20
	v_lshlrev_b32_e32 v1, 3, v0
	v_mov_b32_e32 v2, 0
	s_ashr_i32 s7, s6, 31
	s_waitcnt lgkmcnt(0)
	v_cmp_gt_u32_e32 vcc, s0, v1
	v_lshlrev_b32_e32 v1, 4, v0
	v_mov_b32_e32 v6, 0
	v_mov_b32_e32 v4, 0
	;; [unrolled: 1-line block ×7, first 2 shown]
	s_and_saveexec_b64 s[0:1], vcc
	s_cbranch_execz .LBB21_2
; %bb.1:
	s_load_dwordx2 s[2:3], s[4:5], 0x10
	s_waitcnt lgkmcnt(0)
	s_mul_i32 s8, s2, s7
	s_mul_hi_u32 s9, s2, s6
	s_mul_i32 s3, s3, s6
	s_add_i32 s8, s9, s8
	s_mul_i32 s2, s2, s6
	s_add_i32 s3, s8, s3
	s_lshl_b64 s[2:3], s[2:3], 1
	s_add_u32 s2, s14, s2
	s_addc_u32 s3, s15, s3
	global_load_dwordx4 v[10:13], v1, s[2:3]
	s_waitcnt vmcnt(0)
	v_cvt_f32_f16_e32 v5, v10
	v_cvt_f32_f16_sdwa v9, v10 dst_sel:DWORD dst_unused:UNUSED_PAD src0_sel:WORD_1
	v_cvt_f32_f16_e32 v3, v11
	v_cvt_f32_f16_sdwa v7, v11 dst_sel:DWORD dst_unused:UNUSED_PAD src0_sel:WORD_1
	;; [unrolled: 2-line block ×4, first 2 shown]
.LBB21_2:
	s_or_b64 exec, exec, s[0:1]
	v_pk_add_f32 v[10:11], v[8:9], v[4:5]
	v_pk_add_f32 v[12:13], v[6:7], v[2:3]
	v_pk_add_f32 v[4:5], v[4:5], v[8:9] neg_lo:[0,1] neg_hi:[0,1]
	v_pk_add_f32 v[2:3], v[2:3], v[6:7] neg_lo:[0,1] neg_hi:[0,1]
	v_pk_add_f32 v[14:15], v[12:13], v[10:11]
	v_pk_add_f32 v[6:7], v[2:3], v[4:5]
	v_pk_add_f32 v[10:11], v[10:11], v[12:13] neg_lo:[0,1] neg_hi:[0,1]
	v_pk_add_f32 v[2:3], v[4:5], v[2:3] neg_lo:[0,1] neg_hi:[0,1]
	v_mov_b32_e32 v4, v15
	v_mov_b32_e32 v12, v7
	v_pk_add_f32 v[8:9], v[14:15], v[4:5]
	v_pk_add_f32 v[4:5], v[4:5], v[14:15] neg_lo:[0,1] neg_hi:[0,1]
	v_pk_add_f32 v[14:15], v[6:7], v[12:13]
	v_pk_add_f32 v[6:7], v[12:13], v[6:7] neg_lo:[0,1] neg_hi:[0,1]
	v_mov_b32_e32 v12, v11
	v_pk_add_f32 v[16:17], v[10:11], v[12:13]
	v_pk_add_f32 v[10:11], v[12:13], v[10:11] neg_lo:[0,1] neg_hi:[0,1]
	v_mov_b32_e32 v12, v3
	v_pk_add_f32 v[18:19], v[2:3], v[12:13]
	v_pk_add_f32 v[2:3], v[12:13], v[2:3] neg_lo:[0,1] neg_hi:[0,1]
	v_mbcnt_lo_u32_b32 v3, -1, 0
	v_mbcnt_hi_u32_b32 v19, -1, v3
	v_and_b32_e32 v3, 64, v19
	v_add_u32_e32 v20, 64, v3
	v_xor_b32_e32 v3, 1, v19
	v_cmp_lt_i32_e64 s[0:1], v3, v20
	v_cndmask_b32_e64 v3, v19, v3, s[0:1]
	v_lshlrev_b32_e32 v21, 2, v3
	ds_bpermute_b32 v3, v21, v8
	v_and_b32_e32 v5, 1, v0
	v_cmp_eq_u32_e64 s[0:1], 0, v5
	v_cndmask_b32_e64 v5, -v8, v8, s[0:1]
	v_cndmask_b32_e64 v9, -v16, v16, s[0:1]
	s_waitcnt lgkmcnt(0)
	v_add_f32_e32 v3, v5, v3
	ds_bpermute_b32 v5, v21, v16
	ds_bpermute_b32 v7, v21, v14
	v_cndmask_b32_e64 v8, -v14, v14, s[0:1]
	v_cndmask_b32_e64 v11, -v18, v18, s[0:1]
	ds_bpermute_b32 v12, v21, v2
	s_waitcnt lgkmcnt(2)
	v_add_f32_e32 v5, v9, v5
	ds_bpermute_b32 v9, v21, v4
	v_cndmask_b32_e64 v4, -v4, v4, s[0:1]
	s_waitcnt lgkmcnt(2)
	v_add_f32_e32 v7, v8, v7
	ds_bpermute_b32 v8, v21, v18
	v_cndmask_b32_e64 v2, -v2, v2, s[0:1]
	;; [unrolled: 4-line block ×4, first 2 shown]
	s_waitcnt lgkmcnt(1)
	v_add_f32_e32 v9, v10, v9
	v_xor_b32_e32 v10, 2, v19
	v_cmp_lt_i32_e64 s[2:3], v10, v20
	v_cndmask_b32_e64 v10, v19, v10, s[2:3]
	v_lshlrev_b32_e32 v22, 2, v10
	ds_bpermute_b32 v10, v22, v3
	s_waitcnt lgkmcnt(1)
	v_add_f32_e32 v6, v6, v11
	v_and_b32_e32 v11, 2, v0
	v_cmp_eq_u32_e64 s[2:3], 0, v11
	v_cndmask_b32_e64 v3, -v3, v3, s[2:3]
	s_waitcnt lgkmcnt(0)
	v_add_f32_e32 v3, v3, v10
	ds_bpermute_b32 v10, v22, v5
	v_cndmask_b32_e64 v5, -v5, v5, s[2:3]
	ds_bpermute_b32 v11, v22, v8
	v_add_f32_e32 v2, v2, v12
	ds_bpermute_b32 v12, v22, v7
	s_waitcnt lgkmcnt(2)
	v_add_f32_e32 v5, v5, v10
	ds_bpermute_b32 v10, v22, v4
	v_cndmask_b32_e64 v4, -v4, v4, s[2:3]
	v_cndmask_b32_e64 v8, -v8, v8, s[2:3]
	s_waitcnt lgkmcnt(2)
	v_add_f32_e32 v8, v8, v11
	ds_bpermute_b32 v11, v22, v6
	s_waitcnt lgkmcnt(1)
	v_add_f32_e32 v4, v4, v10
	ds_bpermute_b32 v10, v22, v9
	v_cndmask_b32_e64 v9, -v9, v9, s[2:3]
	v_cndmask_b32_e64 v7, -v7, v7, s[2:3]
	v_add_f32_e32 v7, v7, v12
	ds_bpermute_b32 v12, v22, v2
	s_waitcnt lgkmcnt(1)
	v_add_f32_e32 v9, v9, v10
	v_xor_b32_e32 v10, 4, v19
	v_cmp_lt_i32_e64 s[8:9], v10, v20
	v_cndmask_b32_e64 v10, v19, v10, s[8:9]
	v_cndmask_b32_e64 v6, -v6, v6, s[2:3]
	v_lshlrev_b32_e32 v10, 2, v10
	v_add_f32_e32 v6, v6, v11
	ds_bpermute_b32 v11, v10, v3
	v_cndmask_b32_e64 v2, -v2, v2, s[2:3]
	s_waitcnt lgkmcnt(1)
	v_add_f32_e32 v2, v2, v12
	v_and_b32_e32 v12, 4, v0
	v_cmp_eq_u32_e64 s[8:9], 0, v12
	v_cndmask_b32_e64 v3, -v3, v3, s[8:9]
	s_waitcnt lgkmcnt(0)
	v_add_f32_e32 v3, v3, v11
	ds_bpermute_b32 v11, v10, v5
	v_cndmask_b32_e64 v5, -v5, v5, s[8:9]
	ds_bpermute_b32 v13, v10, v7
	ds_bpermute_b32 v12, v10, v8
	v_cndmask_b32_e64 v7, -v7, v7, s[8:9]
	s_waitcnt lgkmcnt(2)
	v_add_f32_e32 v11, v5, v11
	ds_bpermute_b32 v5, v10, v4
	v_cndmask_b32_e64 v8, -v8, v8, s[8:9]
	v_cndmask_b32_e64 v4, -v4, v4, s[8:9]
	s_waitcnt lgkmcnt(2)
	v_add_f32_e32 v7, v7, v13
	s_waitcnt lgkmcnt(1)
	v_add_f32_e32 v12, v8, v12
	ds_bpermute_b32 v8, v10, v6
	s_waitcnt lgkmcnt(1)
	v_add_f32_e32 v13, v4, v5
	v_cndmask_b32_e64 v5, -v6, v6, s[8:9]
	ds_bpermute_b32 v6, v10, v2
	ds_bpermute_b32 v4, v10, v9
	v_cndmask_b32_e64 v2, -v2, v2, s[8:9]
	s_waitcnt lgkmcnt(2)
	v_add_f32_e32 v14, v5, v8
	v_cndmask_b32_e64 v5, -v9, v9, s[8:9]
	s_waitcnt lgkmcnt(1)
	v_add_f32_e32 v17, v2, v6
	v_xor_b32_e32 v2, 8, v19
	v_cmp_lt_i32_e64 s[8:9], v2, v20
	s_waitcnt lgkmcnt(0)
	v_add_f32_e32 v15, v5, v4
	v_and_b32_e32 v4, 8, v0
	v_cndmask_b32_e64 v2, v19, v2, s[8:9]
	v_lshlrev_b32_e32 v18, 2, v2
	v_cmp_eq_u32_e64 s[8:9], 0, v4
	ds_bpermute_b32 v2, v18, v3
	v_cndmask_b32_e64 v4, -v3, v3, s[8:9]
	ds_bpermute_b32 v3, v18, v7
	v_cndmask_b32_e64 v5, -v7, v7, s[8:9]
	;; [unrolled: 2-line block ×7, first 2 shown]
	ds_bpermute_b32 v15, v18, v17
	v_xor_b32_e32 v18, 16, v19
	v_cndmask_b32_e64 v17, -v17, v17, s[8:9]
	v_cmp_lt_i32_e64 s[8:9], v18, v20
	v_cndmask_b32_e64 v18, v19, v18, s[8:9]
	v_lshlrev_b32_e32 v24, 2, v18
	v_xor_b32_e32 v18, 32, v19
	v_cmp_lt_i32_e64 s[8:9], v18, v20
	v_cndmask_b32_e64 v18, v19, v18, s[8:9]
	v_lshlrev_b32_e32 v20, 2, v18
	v_lshrrev_b32_e32 v18, 6, v0
	s_waitcnt lgkmcnt(6)
	v_pk_add_f32 v[4:5], v[4:5], v[2:3]
	s_waitcnt lgkmcnt(4)
	v_pk_add_f32 v[6:7], v[8:9], v[6:7]
	v_xor_b32_e32 v27, v18, v0
	ds_bpermute_b32 v18, v24, v4
	ds_bpermute_b32 v19, v24, v5
	;; [unrolled: 1-line block ×4, first 2 shown]
	v_and_b32_e32 v23, 16, v0
	v_cmp_eq_u32_e64 s[8:9], 0, v23
	v_cndmask_b32_e64 v5, -v5, v5, s[8:9]
	v_cndmask_b32_e64 v4, -v4, v4, s[8:9]
	;; [unrolled: 1-line block ×4, first 2 shown]
	s_waitcnt lgkmcnt(2)
	v_pk_add_f32 v[4:5], v[4:5], v[18:19]
	s_waitcnt lgkmcnt(0)
	v_pk_add_f32 v[6:7], v[6:7], v[8:9]
	ds_bpermute_b32 v18, v20, v4
	ds_bpermute_b32 v19, v20, v5
	;; [unrolled: 1-line block ×4, first 2 shown]
	v_and_b32_e32 v25, 32, v0
	v_cmp_eq_u32_e64 s[10:11], 0, v25
	v_cndmask_b32_e64 v5, -v5, v5, s[10:11]
	v_cndmask_b32_e64 v4, -v4, v4, s[10:11]
	;; [unrolled: 1-line block ×4, first 2 shown]
	v_pk_add_f32 v[10:11], v[12:13], v[10:11]
	v_lshl_add_u32 v2, v27, 4, 0
	s_waitcnt lgkmcnt(2)
	v_pk_add_f32 v[4:5], v[4:5], v[18:19]
	ds_bpermute_b32 v12, v24, v10
	ds_bpermute_b32 v13, v24, v11
	s_waitcnt lgkmcnt(2)
	v_pk_add_f32 v[6:7], v[6:7], v[8:9]
	v_pk_add_f32 v[8:9], v[16:17], v[14:15]
	s_waitcnt lgkmcnt(0)
	s_barrier
	ds_write_b128 v2, v[4:7]
	v_cndmask_b32_e64 v5, -v11, v11, s[8:9]
	v_cndmask_b32_e64 v4, -v10, v10, s[8:9]
	ds_bpermute_b32 v10, v24, v8
	ds_bpermute_b32 v11, v24, v9
	v_pk_add_f32 v[4:5], v[4:5], v[12:13]
	v_cndmask_b32_e64 v9, -v9, v9, s[8:9]
	v_cndmask_b32_e64 v8, -v8, v8, s[8:9]
	ds_bpermute_b32 v6, v20, v4
	ds_bpermute_b32 v7, v20, v5
	s_waitcnt lgkmcnt(2)
	v_pk_add_f32 v[8:9], v[8:9], v[10:11]
	ds_bpermute_b32 v10, v20, v8
	ds_bpermute_b32 v11, v20, v9
	v_and_b32_e32 v26, 3, v0
	v_lshrrev_b32_e32 v0, 2, v0
	v_cndmask_b32_e64 v5, -v5, v5, s[10:11]
	v_cndmask_b32_e64 v4, -v4, v4, s[10:11]
	v_lshl_or_b32 v0, v26, 6, v0
	s_waitcnt lgkmcnt(2)
	v_pk_add_f32 v[4:5], v[4:5], v[6:7]
	v_cndmask_b32_e64 v7, -v9, v9, s[10:11]
	v_cndmask_b32_e64 v6, -v8, v8, s[10:11]
	v_xor_b32_e32 v0, v0, v26
	s_waitcnt lgkmcnt(0)
	v_pk_add_f32 v[6:7], v[6:7], v[10:11]
	v_lshl_add_u32 v0, v0, 4, 0
	ds_write_b128 v2, v[4:7] offset:4096
	s_waitcnt lgkmcnt(0)
	s_barrier
	ds_read_b128 v[4:7], v0
	ds_read_b128 v[8:11], v0 offset:4096
	s_waitcnt lgkmcnt(0)
	s_barrier
	ds_bpermute_b32 v12, v21, v4
	ds_bpermute_b32 v13, v21, v5
	;; [unrolled: 1-line block ×4, first 2 shown]
	v_cndmask_b32_e64 v5, -v5, v5, s[0:1]
	v_cndmask_b32_e64 v4, -v4, v4, s[0:1]
	;; [unrolled: 1-line block ×4, first 2 shown]
	s_waitcnt lgkmcnt(0)
	v_pk_add_f32 v[6:7], v[6:7], v[14:15]
	v_pk_add_f32 v[4:5], v[4:5], v[12:13]
	ds_bpermute_b32 v12, v22, v4
	ds_bpermute_b32 v13, v22, v5
	;; [unrolled: 1-line block ×8, first 2 shown]
	v_cndmask_b32_e64 v5, -v5, v5, s[2:3]
	v_cndmask_b32_e64 v4, -v4, v4, s[2:3]
	v_cndmask_b32_e64 v7, -v7, v7, s[2:3]
	v_cndmask_b32_e64 v6, -v6, v6, s[2:3]
	s_waitcnt lgkmcnt(4)
	v_pk_add_f32 v[6:7], v[6:7], v[14:15]
	v_pk_add_f32 v[4:5], v[4:5], v[12:13]
	ds_write_b128 v0, v[4:7]
	v_cndmask_b32_e64 v5, -v9, v9, s[0:1]
	v_cndmask_b32_e64 v4, -v8, v8, s[0:1]
	;; [unrolled: 1-line block ×4, first 2 shown]
	s_waitcnt lgkmcnt(1)
	v_pk_add_f32 v[6:7], v[6:7], v[18:19]
	v_pk_add_f32 v[4:5], v[4:5], v[16:17]
	ds_bpermute_b32 v8, v22, v4
	ds_bpermute_b32 v9, v22, v5
	;; [unrolled: 1-line block ×4, first 2 shown]
	v_cndmask_b32_e64 v5, -v5, v5, s[2:3]
	v_cndmask_b32_e64 v4, -v4, v4, s[2:3]
	;; [unrolled: 1-line block ×4, first 2 shown]
	s_waitcnt lgkmcnt(0)
	v_pk_add_f32 v[6:7], v[6:7], v[10:11]
	v_pk_add_f32 v[4:5], v[4:5], v[8:9]
	ds_write_b128 v0, v[4:7] offset:4096
	s_waitcnt lgkmcnt(0)
	s_barrier
	s_and_saveexec_b64 s[0:1], vcc
	s_cbranch_execz .LBB21_4
; %bb.3:
	s_load_dwordx2 s[0:1], s[4:5], 0x18
	s_load_dwordx2 s[2:3], s[4:5], 0x30
	ds_read_b128 v[4:7], v2
	ds_read_b128 v[8:11], v2 offset:4096
	s_waitcnt lgkmcnt(0)
	s_mul_i32 s4, s0, s7
	s_mul_hi_u32 s5, s0, s6
	v_pk_mul_f32 v[2:3], s[12:13], v[4:5] op_sel_hi:[0,1]
	v_pk_mul_f32 v[4:5], s[12:13], v[6:7] op_sel_hi:[0,1]
	v_cvt_f16_f32_e32 v0, v5
	v_cvt_f16_f32_e32 v5, v3
	;; [unrolled: 1-line block ×3, first 2 shown]
	v_pk_mul_f32 v[2:3], s[12:13], v[8:9] op_sel_hi:[0,1]
	v_pk_mul_f32 v[6:7], s[12:13], v[10:11] op_sel_hi:[0,1]
	s_mul_i32 s1, s1, s6
	s_add_i32 s4, s5, s4
	v_cvt_f16_f32_e32 v3, v3
	v_cvt_f16_f32_e32 v2, v2
	;; [unrolled: 1-line block ×5, first 2 shown]
	s_mul_i32 s0, s0, s6
	s_add_i32 s1, s4, s1
	s_lshl_b64 s[0:1], s[0:1], 1
	s_add_u32 s0, s2, s0
	s_addc_u32 s1, s3, s1
	v_pack_b32_f16 v4, v2, v3
	v_pack_b32_f16 v2, v12, v5
	;; [unrolled: 1-line block ×4, first 2 shown]
	global_store_dwordx4 v1, v[2:5], s[0:1]
.LBB21_4:
	s_endpgm
	.section	.rodata,"a",@progbits
	.p2align	6, 0x0
	.amdhsa_kernel _Z30fast_hadamard_transform_kernelI37fast_hadamard_transform_kernel_traitsILi256ELi11E6__halfEEv18HadamardParamsBase
		.amdhsa_group_segment_fixed_size 0
		.amdhsa_private_segment_fixed_size 0
		.amdhsa_kernarg_size 56
		.amdhsa_user_sgpr_count 6
		.amdhsa_user_sgpr_private_segment_buffer 1
		.amdhsa_user_sgpr_dispatch_ptr 0
		.amdhsa_user_sgpr_queue_ptr 0
		.amdhsa_user_sgpr_kernarg_segment_ptr 1
		.amdhsa_user_sgpr_dispatch_id 0
		.amdhsa_user_sgpr_flat_scratch_init 0
		.amdhsa_user_sgpr_kernarg_preload_length 0
		.amdhsa_user_sgpr_kernarg_preload_offset 0
		.amdhsa_user_sgpr_private_segment_size 0
		.amdhsa_uses_dynamic_stack 0
		.amdhsa_system_sgpr_private_segment_wavefront_offset 0
		.amdhsa_system_sgpr_workgroup_id_x 1
		.amdhsa_system_sgpr_workgroup_id_y 0
		.amdhsa_system_sgpr_workgroup_id_z 0
		.amdhsa_system_sgpr_workgroup_info 0
		.amdhsa_system_vgpr_workitem_id 0
		.amdhsa_next_free_vgpr 28
		.amdhsa_next_free_sgpr 16
		.amdhsa_accum_offset 28
		.amdhsa_reserve_vcc 1
		.amdhsa_reserve_flat_scratch 0
		.amdhsa_float_round_mode_32 0
		.amdhsa_float_round_mode_16_64 0
		.amdhsa_float_denorm_mode_32 3
		.amdhsa_float_denorm_mode_16_64 3
		.amdhsa_dx10_clamp 1
		.amdhsa_ieee_mode 1
		.amdhsa_fp16_overflow 0
		.amdhsa_tg_split 0
		.amdhsa_exception_fp_ieee_invalid_op 0
		.amdhsa_exception_fp_denorm_src 0
		.amdhsa_exception_fp_ieee_div_zero 0
		.amdhsa_exception_fp_ieee_overflow 0
		.amdhsa_exception_fp_ieee_underflow 0
		.amdhsa_exception_fp_ieee_inexact 0
		.amdhsa_exception_int_div_zero 0
	.end_amdhsa_kernel
	.section	.text._Z30fast_hadamard_transform_kernelI37fast_hadamard_transform_kernel_traitsILi256ELi11E6__halfEEv18HadamardParamsBase,"axG",@progbits,_Z30fast_hadamard_transform_kernelI37fast_hadamard_transform_kernel_traitsILi256ELi11E6__halfEEv18HadamardParamsBase,comdat
.Lfunc_end21:
	.size	_Z30fast_hadamard_transform_kernelI37fast_hadamard_transform_kernel_traitsILi256ELi11E6__halfEEv18HadamardParamsBase, .Lfunc_end21-_Z30fast_hadamard_transform_kernelI37fast_hadamard_transform_kernel_traitsILi256ELi11E6__halfEEv18HadamardParamsBase
                                        ; -- End function
	.section	.AMDGPU.csdata,"",@progbits
; Kernel info:
; codeLenInByte = 2300
; NumSgprs: 20
; NumVgprs: 28
; NumAgprs: 0
; TotalNumVgprs: 28
; ScratchSize: 0
; MemoryBound: 0
; FloatMode: 240
; IeeeMode: 1
; LDSByteSize: 0 bytes/workgroup (compile time only)
; SGPRBlocks: 2
; VGPRBlocks: 3
; NumSGPRsForWavesPerEU: 20
; NumVGPRsForWavesPerEU: 28
; AccumOffset: 28
; Occupancy: 8
; WaveLimiterHint : 0
; COMPUTE_PGM_RSRC2:SCRATCH_EN: 0
; COMPUTE_PGM_RSRC2:USER_SGPR: 6
; COMPUTE_PGM_RSRC2:TRAP_HANDLER: 0
; COMPUTE_PGM_RSRC2:TGID_X_EN: 1
; COMPUTE_PGM_RSRC2:TGID_Y_EN: 0
; COMPUTE_PGM_RSRC2:TGID_Z_EN: 0
; COMPUTE_PGM_RSRC2:TIDIG_COMP_CNT: 0
; COMPUTE_PGM_RSRC3_GFX90A:ACCUM_OFFSET: 6
; COMPUTE_PGM_RSRC3_GFX90A:TG_SPLIT: 0
	.section	.text._Z30fast_hadamard_transform_kernelI37fast_hadamard_transform_kernel_traitsILi256ELi12E6__halfEEv18HadamardParamsBase,"axG",@progbits,_Z30fast_hadamard_transform_kernelI37fast_hadamard_transform_kernel_traitsILi256ELi12E6__halfEEv18HadamardParamsBase,comdat
	.protected	_Z30fast_hadamard_transform_kernelI37fast_hadamard_transform_kernel_traitsILi256ELi12E6__halfEEv18HadamardParamsBase ; -- Begin function _Z30fast_hadamard_transform_kernelI37fast_hadamard_transform_kernel_traitsILi256ELi12E6__halfEEv18HadamardParamsBase
	.globl	_Z30fast_hadamard_transform_kernelI37fast_hadamard_transform_kernel_traitsILi256ELi12E6__halfEEv18HadamardParamsBase
	.p2align	8
	.type	_Z30fast_hadamard_transform_kernelI37fast_hadamard_transform_kernel_traitsILi256ELi12E6__halfEEv18HadamardParamsBase,@function
_Z30fast_hadamard_transform_kernelI37fast_hadamard_transform_kernel_traitsILi256ELi12E6__halfEEv18HadamardParamsBase: ; @_Z30fast_hadamard_transform_kernelI37fast_hadamard_transform_kernel_traitsILi256ELi12E6__halfEEv18HadamardParamsBase
; %bb.0:
	s_load_dwordx8 s[12:19], s[4:5], 0x10
	s_load_dword s8, s[4:5], 0x4
	s_ashr_i32 s7, s6, 31
	v_lshlrev_b32_e32 v1, 3, v0
	v_mov_b32_e32 v2, 0
	s_waitcnt lgkmcnt(0)
	s_mul_hi_u32 s0, s12, s6
	s_mul_i32 s1, s12, s7
	s_add_i32 s0, s0, s1
	s_mul_i32 s1, s13, s6
	s_add_i32 s1, s0, s1
	s_mul_i32 s0, s12, s6
	s_load_dwordx2 s[12:13], s[4:5], 0x30
	s_load_dword s9, s[4:5], 0x44
	s_lshl_b64 s[0:1], s[0:1], 1
	s_add_u32 s2, s18, s0
	s_addc_u32 s3, s19, s1
	v_cmp_gt_u32_e64 s[0:1], s8, v1
	v_lshlrev_b32_e32 v19, 4, v0
	v_mov_b32_e32 v4, 0
	v_mov_b32_e32 v5, 0
	;; [unrolled: 1-line block ×8, first 2 shown]
	s_and_saveexec_b64 s[4:5], s[0:1]
	s_cbranch_execz .LBB22_2
; %bb.1:
	global_load_dwordx4 v[12:15], v19, s[2:3]
	s_waitcnt vmcnt(0)
	v_cvt_f32_f16_e32 v10, v12
	v_cvt_f32_f16_sdwa v11, v12 dst_sel:DWORD dst_unused:UNUSED_PAD src0_sel:WORD_1
	v_cvt_f32_f16_e32 v8, v13
	v_cvt_f32_f16_sdwa v9, v13 dst_sel:DWORD dst_unused:UNUSED_PAD src0_sel:WORD_1
	;; [unrolled: 2-line block ×4, first 2 shown]
.LBB22_2:
	s_or_b64 exec, exec, s[4:5]
	s_waitcnt lgkmcnt(0)
	s_and_b32 s4, 0xffff, s9
	v_add_u32_e32 v1, s4, v0
	v_lshlrev_b32_e32 v3, 3, v1
	v_cmp_gt_u32_e32 vcc, s8, v3
	v_lshlrev_b32_e32 v18, 4, v1
	v_mov_b32_e32 v14, 0
	v_mov_b32_e32 v12, 0
	;; [unrolled: 1-line block ×7, first 2 shown]
	s_and_saveexec_b64 s[4:5], vcc
	s_cbranch_execz .LBB22_4
; %bb.3:
	global_load_dwordx4 v[20:23], v18, s[2:3]
	s_waitcnt vmcnt(0)
	v_cvt_f32_f16_e32 v13, v20
	v_cvt_f32_f16_sdwa v17, v20 dst_sel:DWORD dst_unused:UNUSED_PAD src0_sel:WORD_1
	v_cvt_f32_f16_e32 v3, v21
	v_cvt_f32_f16_sdwa v15, v21 dst_sel:DWORD dst_unused:UNUSED_PAD src0_sel:WORD_1
	;; [unrolled: 2-line block ×4, first 2 shown]
.LBB22_4:
	s_or_b64 exec, exec, s[4:5]
	v_mov_b32_e32 v20, v11
	v_pk_add_f32 v[22:23], v[20:21], v[10:11] op_sel_hi:[0,1]
	v_pk_add_f32 v[10:11], v[10:11], v[20:21] op_sel_hi:[1,0] neg_lo:[0,1] neg_hi:[0,1]
	v_mov_b32_e32 v20, v9
	v_pk_add_f32 v[24:25], v[20:21], v[8:9] op_sel_hi:[0,1]
	v_pk_add_f32 v[8:9], v[8:9], v[20:21] op_sel_hi:[1,0] neg_lo:[0,1] neg_hi:[0,1]
	;; [unrolled: 3-line block ×4, first 2 shown]
	v_pk_add_f32 v[20:21], v[24:25], v[22:23]
	v_pk_add_f32 v[22:23], v[22:23], v[24:25] neg_lo:[0,1] neg_hi:[0,1]
	v_pk_add_f32 v[24:25], v[8:9], v[10:11]
	v_pk_add_f32 v[8:9], v[10:11], v[8:9] neg_lo:[0,1] neg_hi:[0,1]
	;; [unrolled: 2-line block ×3, first 2 shown]
	v_pk_add_f32 v[28:29], v[16:17], v[12:13]
	v_pk_add_f32 v[30:31], v[14:15], v[2:3]
	;; [unrolled: 1-line block ×3, first 2 shown]
	v_pk_add_f32 v[28:29], v[28:29], v[30:31] neg_lo:[0,1] neg_hi:[0,1]
	v_pk_add_f32 v[30:31], v[4:5], v[6:7]
	v_pk_add_f32 v[4:5], v[6:7], v[4:5] neg_lo:[0,1] neg_hi:[0,1]
	v_pk_add_f32 v[6:7], v[12:13], v[16:17] neg_lo:[0,1] neg_hi:[0,1]
	v_pk_add_f32 v[2:3], v[2:3], v[14:15] neg_lo:[0,1] neg_hi:[0,1]
	v_pk_add_f32 v[12:13], v[2:3], v[6:7]
	v_pk_add_f32 v[2:3], v[6:7], v[2:3] neg_lo:[0,1] neg_hi:[0,1]
	v_pk_add_f32 v[6:7], v[10:11], v[20:21]
	v_pk_add_f32 v[10:11], v[20:21], v[10:11] neg_lo:[0,1] neg_hi:[0,1]
	v_mov_b32_e32 v14, v33
	v_pk_add_f32 v[20:21], v[30:31], v[24:25]
	v_pk_add_f32 v[24:25], v[24:25], v[30:31] neg_lo:[0,1] neg_hi:[0,1]
	v_mov_b32_e32 v30, v13
	v_pk_add_f32 v[16:17], v[32:33], v[14:15]
	v_pk_add_f32 v[14:15], v[14:15], v[32:33] neg_lo:[0,1] neg_hi:[0,1]
	v_pk_add_f32 v[32:33], v[12:13], v[30:31]
	v_pk_add_f32 v[12:13], v[30:31], v[12:13] neg_lo:[0,1] neg_hi:[0,1]
	;; [unrolled: 2-line block ×3, first 2 shown]
	v_mov_b32_e32 v26, v29
	v_pk_add_f32 v[34:35], v[28:29], v[26:27]
	v_pk_add_f32 v[26:27], v[26:27], v[28:29] neg_lo:[0,1] neg_hi:[0,1]
	v_pk_add_f32 v[28:29], v[4:5], v[8:9]
	v_pk_add_f32 v[4:5], v[8:9], v[4:5] neg_lo:[0,1] neg_hi:[0,1]
	v_mov_b32_e32 v8, v3
	v_mbcnt_lo_u32_b32 v1, -1, 0
	v_pk_add_f32 v[36:37], v[2:3], v[8:9]
	v_pk_add_f32 v[8:9], v[8:9], v[2:3] neg_lo:[0,1] neg_hi:[0,1]
	v_mbcnt_hi_u32_b32 v3, -1, v1
	v_and_b32_e32 v1, 64, v3
	v_add_u32_e32 v38, 64, v1
	v_xor_b32_e32 v1, 1, v3
	v_cmp_lt_i32_e64 s[2:3], v1, v38
	v_cndmask_b32_e64 v1, v3, v1, s[2:3]
	v_lshlrev_b32_e32 v2, 2, v1
	ds_bpermute_b32 v1, v2, v6
	v_and_b32_e32 v5, 1, v0
	v_cmp_eq_u32_e64 s[2:3], 0, v5
	ds_bpermute_b32 v7, v2, v20
	v_cndmask_b32_e64 v5, -v6, v6, s[2:3]
	s_waitcnt lgkmcnt(1)
	v_add_f32_e32 v5, v5, v1
	ds_bpermute_b32 v1, v2, v30
	v_cndmask_b32_e64 v6, -v20, v20, s[2:3]
	s_waitcnt lgkmcnt(1)
	v_add_f32_e32 v6, v6, v7
	;; [unrolled: 4-line block ×12, first 2 shown]
	v_cndmask_b32_e64 v14, -v14, v14, s[2:3]
	ds_bpermute_b32 v21, v2, v12
	s_waitcnt lgkmcnt(1)
	v_add_f32_e32 v14, v14, v1
	ds_bpermute_b32 v1, v2, v26
	ds_bpermute_b32 v22, v2, v8
	v_cndmask_b32_e64 v12, -v12, v12, s[2:3]
	s_waitcnt lgkmcnt(2)
	v_add_f32_e32 v12, v12, v21
	v_cndmask_b32_e64 v21, -v26, v26, s[2:3]
	s_waitcnt lgkmcnt(1)
	v_add_f32_e32 v21, v21, v1
	;; [unrolled: 3-line block ×3, first 2 shown]
	v_xor_b32_e32 v1, 2, v3
	v_cmp_lt_i32_e64 s[4:5], v1, v38
	v_cndmask_b32_e64 v1, v3, v1, s[4:5]
	v_lshlrev_b32_e32 v1, 2, v1
	ds_bpermute_b32 v22, v1, v5
	v_and_b32_e32 v23, 2, v0
	v_cmp_eq_u32_e64 s[4:5], 0, v23
	v_cndmask_b32_e64 v5, -v5, v5, s[4:5]
	ds_bpermute_b32 v23, v1, v7
	s_waitcnt lgkmcnt(1)
	v_add_f32_e32 v5, v5, v22
	ds_bpermute_b32 v22, v1, v9
	v_cndmask_b32_e64 v9, -v9, v9, s[4:5]
	v_cndmask_b32_e64 v7, -v7, v7, s[4:5]
	s_waitcnt lgkmcnt(1)
	v_add_f32_e32 v7, v7, v23
	ds_bpermute_b32 v23, v1, v11
	s_waitcnt lgkmcnt(1)
	v_add_f32_e32 v9, v9, v22
	ds_bpermute_b32 v22, v1, v10
	v_cndmask_b32_e64 v10, -v10, v10, s[4:5]
	v_cndmask_b32_e64 v11, -v11, v11, s[4:5]
	s_waitcnt lgkmcnt(1)
	v_add_f32_e32 v11, v11, v23
	;; [unrolled: 8-line block ×4, first 2 shown]
	ds_bpermute_b32 v23, v1, v17
	s_waitcnt lgkmcnt(1)
	v_add_f32_e32 v16, v16, v22
	ds_bpermute_b32 v22, v1, v20
	v_cndmask_b32_e64 v20, -v20, v20, s[4:5]
	ds_bpermute_b32 v24, v1, v6
	v_cndmask_b32_e64 v17, -v17, v17, s[4:5]
	s_waitcnt lgkmcnt(2)
	v_add_f32_e32 v17, v17, v23
	s_waitcnt lgkmcnt(1)
	v_add_f32_e32 v20, v20, v22
	ds_bpermute_b32 v22, v1, v14
	v_cndmask_b32_e64 v14, -v14, v14, s[4:5]
	ds_bpermute_b32 v23, v1, v12
	v_cndmask_b32_e64 v6, -v6, v6, s[4:5]
	s_waitcnt lgkmcnt(2)
	v_add_f32_e32 v6, v6, v24
	;; [unrolled: 8-line block ×3, first 2 shown]
	s_waitcnt lgkmcnt(1)
	v_add_f32_e32 v21, v21, v22
	v_xor_b32_e32 v22, 4, v3
	v_cmp_lt_i32_e64 s[8:9], v22, v38
	v_cndmask_b32_e64 v22, v3, v22, s[8:9]
	v_lshlrev_b32_e32 v22, 2, v22
	ds_bpermute_b32 v23, v22, v5
	v_cndmask_b32_e64 v8, -v8, v8, s[4:5]
	s_waitcnt lgkmcnt(1)
	v_add_f32_e32 v8, v8, v24
	v_and_b32_e32 v24, 4, v0
	v_cmp_eq_u32_e64 s[8:9], 0, v24
	ds_bpermute_b32 v25, v22, v6
	v_cndmask_b32_e64 v5, -v5, v5, s[8:9]
	s_waitcnt lgkmcnt(1)
	v_add_f32_e32 v5, v5, v23
	ds_bpermute_b32 v23, v22, v9
	v_cndmask_b32_e64 v6, -v6, v6, s[8:9]
	s_waitcnt lgkmcnt(1)
	v_add_f32_e32 v24, v6, v25
	;; [unrolled: 4-line block ×12, first 2 shown]
	v_cndmask_b32_e64 v4, -v14, v14, s[8:9]
	ds_bpermute_b32 v7, v22, v12
	s_waitcnt lgkmcnt(1)
	v_add_f32_e32 v33, v4, v6
	ds_bpermute_b32 v4, v22, v21
	ds_bpermute_b32 v10, v22, v8
	v_cndmask_b32_e64 v6, -v12, v12, s[8:9]
	s_waitcnt lgkmcnt(2)
	v_add_f32_e32 v34, v6, v7
	v_cndmask_b32_e64 v6, -v21, v21, s[8:9]
	s_waitcnt lgkmcnt(1)
	v_add_f32_e32 v35, v6, v4
	;; [unrolled: 3-line block ×3, first 2 shown]
	v_xor_b32_e32 v4, 8, v3
	v_cmp_lt_i32_e64 s[8:9], v4, v38
	v_and_b32_e32 v6, 8, v0
	v_cndmask_b32_e64 v4, v3, v4, s[8:9]
	v_lshlrev_b32_e32 v39, 2, v4
	v_cmp_eq_u32_e64 s[8:9], 0, v6
	ds_bpermute_b32 v4, v39, v5
	v_cndmask_b32_e64 v6, -v5, v5, s[8:9]
	ds_bpermute_b32 v5, v39, v24
	v_xor_b32_e32 v40, 16, v3
	v_cndmask_b32_e64 v7, -v24, v24, s[8:9]
	ds_bpermute_b32 v8, v39, v9
	v_cndmask_b32_e64 v10, -v9, v9, s[8:9]
	ds_bpermute_b32 v9, v39, v25
	;; [unrolled: 2-line block ×14, first 2 shown]
	v_cndmask_b32_e64 v37, -v37, v37, s[8:9]
	v_cmp_lt_i32_e64 s[8:9], v40, v38
	v_cndmask_b32_e64 v40, v3, v40, s[8:9]
	v_lshlrev_b32_e32 v40, 2, v40
	s_waitcnt lgkmcnt(14)
	v_pk_add_f32 v[4:5], v[6:7], v[4:5]
	ds_bpermute_b32 v6, v40, v4
	ds_bpermute_b32 v7, v40, v5
	v_xor_b32_e32 v42, 32, v3
	v_and_b32_e32 v39, 16, v0
	v_cmp_lt_i32_e64 s[8:9], v42, v38
	v_cndmask_b32_e64 v3, v3, v42, s[8:9]
	v_cmp_eq_u32_e64 s[8:9], 0, v39
	v_cndmask_b32_e64 v5, -v5, v5, s[8:9]
	v_cndmask_b32_e64 v4, -v4, v4, s[8:9]
	v_lshlrev_b32_e32 v3, 2, v3
	s_waitcnt lgkmcnt(0)
	v_pk_add_f32 v[4:5], v[4:5], v[6:7]
	ds_bpermute_b32 v6, v3, v4
	ds_bpermute_b32 v7, v3, v5
	v_pk_add_f32 v[8:9], v[10:11], v[8:9]
	ds_bpermute_b32 v10, v40, v8
	ds_bpermute_b32 v11, v40, v9
	v_and_b32_e32 v41, 32, v0
	v_cmp_eq_u32_e64 s[10:11], 0, v41
	v_cndmask_b32_e64 v5, -v5, v5, s[10:11]
	v_cndmask_b32_e64 v4, -v4, v4, s[10:11]
	s_waitcnt lgkmcnt(2)
	v_pk_add_f32 v[4:5], v[4:5], v[6:7]
	v_cndmask_b32_e64 v7, -v9, v9, s[8:9]
	v_cndmask_b32_e64 v6, -v8, v8, s[8:9]
	s_waitcnt lgkmcnt(0)
	v_pk_add_f32 v[6:7], v[6:7], v[10:11]
	ds_bpermute_b32 v8, v3, v6
	ds_bpermute_b32 v9, v3, v7
	v_pk_add_f32 v[10:11], v[14:15], v[12:13]
	ds_bpermute_b32 v12, v40, v10
	ds_bpermute_b32 v13, v40, v11
	v_lshrrev_b32_e32 v38, 6, v0
	v_xor_b32_e32 v38, v38, v0
	v_cndmask_b32_e64 v7, -v7, v7, s[10:11]
	v_cndmask_b32_e64 v6, -v6, v6, s[10:11]
	v_lshl_add_u32 v38, v38, 4, 0
	s_waitcnt lgkmcnt(2)
	v_pk_add_f32 v[6:7], v[6:7], v[8:9]
	s_waitcnt lgkmcnt(0)
	s_barrier
	ds_write_b128 v38, v[4:7]
	v_cndmask_b32_e64 v5, -v11, v11, s[8:9]
	v_cndmask_b32_e64 v4, -v10, v10, s[8:9]
	v_pk_add_f32 v[4:5], v[4:5], v[12:13]
	ds_bpermute_b32 v6, v3, v4
	ds_bpermute_b32 v7, v3, v5
	v_pk_add_f32 v[8:9], v[20:21], v[16:17]
	ds_bpermute_b32 v10, v40, v8
	ds_bpermute_b32 v11, v40, v9
	v_cndmask_b32_e64 v5, -v5, v5, s[10:11]
	v_cndmask_b32_e64 v4, -v4, v4, s[10:11]
	s_waitcnt lgkmcnt(2)
	v_pk_add_f32 v[4:5], v[4:5], v[6:7]
	v_cndmask_b32_e64 v7, -v9, v9, s[8:9]
	v_cndmask_b32_e64 v6, -v8, v8, s[8:9]
	s_waitcnt lgkmcnt(0)
	v_pk_add_f32 v[6:7], v[6:7], v[10:11]
	ds_bpermute_b32 v8, v3, v6
	ds_bpermute_b32 v9, v3, v7
	v_pk_add_f32 v[10:11], v[24:25], v[22:23]
	ds_bpermute_b32 v12, v40, v10
	ds_bpermute_b32 v13, v40, v11
	v_cndmask_b32_e64 v7, -v7, v7, s[10:11]
	v_cndmask_b32_e64 v6, -v6, v6, s[10:11]
	s_waitcnt lgkmcnt(2)
	v_pk_add_f32 v[6:7], v[6:7], v[8:9]
	ds_write_b128 v38, v[4:7] offset:4096
	v_cndmask_b32_e64 v5, -v11, v11, s[8:9]
	v_cndmask_b32_e64 v4, -v10, v10, s[8:9]
	s_waitcnt lgkmcnt(1)
	v_pk_add_f32 v[4:5], v[4:5], v[12:13]
	ds_bpermute_b32 v6, v3, v4
	ds_bpermute_b32 v7, v3, v5
	v_pk_add_f32 v[8:9], v[28:29], v[26:27]
	ds_bpermute_b32 v10, v40, v8
	ds_bpermute_b32 v11, v40, v9
	v_cndmask_b32_e64 v5, -v5, v5, s[10:11]
	v_cndmask_b32_e64 v4, -v4, v4, s[10:11]
	s_waitcnt lgkmcnt(2)
	v_pk_add_f32 v[4:5], v[4:5], v[6:7]
	v_cndmask_b32_e64 v7, -v9, v9, s[8:9]
	v_cndmask_b32_e64 v6, -v8, v8, s[8:9]
	s_waitcnt lgkmcnt(0)
	v_pk_add_f32 v[6:7], v[6:7], v[10:11]
	ds_bpermute_b32 v8, v3, v6
	ds_bpermute_b32 v9, v3, v7
	v_cndmask_b32_e64 v7, -v7, v7, s[10:11]
	v_cndmask_b32_e64 v6, -v6, v6, s[10:11]
	v_pk_add_f32 v[10:11], v[32:33], v[30:31]
	ds_bpermute_b32 v12, v40, v10
	ds_bpermute_b32 v13, v40, v11
	s_waitcnt lgkmcnt(2)
	v_pk_add_f32 v[6:7], v[6:7], v[8:9]
	v_pk_add_f32 v[8:9], v[36:37], v[34:35]
	ds_write_b128 v38, v[4:7] offset:8192
	v_cndmask_b32_e64 v5, -v11, v11, s[8:9]
	v_cndmask_b32_e64 v4, -v10, v10, s[8:9]
	ds_bpermute_b32 v10, v40, v8
	ds_bpermute_b32 v11, v40, v9
	s_waitcnt lgkmcnt(3)
	v_pk_add_f32 v[4:5], v[4:5], v[12:13]
	v_cndmask_b32_e64 v9, -v9, v9, s[8:9]
	v_cndmask_b32_e64 v8, -v8, v8, s[8:9]
	ds_bpermute_b32 v6, v3, v4
	ds_bpermute_b32 v7, v3, v5
	s_waitcnt lgkmcnt(2)
	v_pk_add_f32 v[8:9], v[8:9], v[10:11]
	ds_bpermute_b32 v10, v3, v8
	ds_bpermute_b32 v11, v3, v9
	v_and_b32_e32 v42, 3, v0
	v_lshrrev_b32_e32 v0, 2, v0
	v_cndmask_b32_e64 v5, -v5, v5, s[10:11]
	v_cndmask_b32_e64 v4, -v4, v4, s[10:11]
	v_lshl_or_b32 v0, v42, 6, v0
	s_waitcnt lgkmcnt(2)
	v_pk_add_f32 v[4:5], v[4:5], v[6:7]
	v_cndmask_b32_e64 v7, -v9, v9, s[10:11]
	v_cndmask_b32_e64 v6, -v8, v8, s[10:11]
	v_xor_b32_e32 v0, v0, v42
	s_waitcnt lgkmcnt(0)
	v_pk_add_f32 v[6:7], v[6:7], v[10:11]
	v_lshl_add_u32 v39, v0, 4, 0
	ds_write_b128 v38, v[4:7] offset:12288
	s_waitcnt lgkmcnt(0)
	s_barrier
	ds_read_b128 v[4:7], v39
	ds_read_b128 v[8:11], v39 offset:4096
	ds_read_b128 v[12:15], v39 offset:8192
	;; [unrolled: 1-line block ×3, first 2 shown]
	s_waitcnt lgkmcnt(0)
	ds_bpermute_b32 v16, v2, v4
	ds_bpermute_b32 v17, v2, v5
	;; [unrolled: 1-line block ×16, first 2 shown]
	v_cndmask_b32_e64 v3, -v5, v5, s[2:3]
	v_cndmask_b32_e64 v2, -v4, v4, s[2:3]
	v_cndmask_b32_e64 v5, -v7, v7, s[2:3]
	v_cndmask_b32_e64 v4, -v6, v6, s[2:3]
	s_waitcnt lgkmcnt(12)
	v_pk_add_f32 v[4:5], v[4:5], v[24:25]
	v_pk_add_f32 v[2:3], v[2:3], v[16:17]
	ds_bpermute_b32 v6, v1, v2
	ds_bpermute_b32 v7, v1, v3
	;; [unrolled: 1-line block ×4, first 2 shown]
	v_cndmask_b32_e64 v3, -v3, v3, s[4:5]
	v_cndmask_b32_e64 v2, -v2, v2, s[4:5]
	;; [unrolled: 1-line block ×4, first 2 shown]
	s_waitcnt lgkmcnt(0)
	v_pk_add_f32 v[4:5], v[4:5], v[16:17]
	v_pk_add_f32 v[2:3], v[2:3], v[6:7]
	s_barrier
	ds_write_b128 v39, v[2:5]
	v_cndmask_b32_e64 v3, -v9, v9, s[2:3]
	v_cndmask_b32_e64 v2, -v8, v8, s[2:3]
	v_cndmask_b32_e64 v5, -v11, v11, s[2:3]
	v_cndmask_b32_e64 v4, -v10, v10, s[2:3]
	v_pk_add_f32 v[4:5], v[4:5], v[28:29]
	v_pk_add_f32 v[2:3], v[2:3], v[26:27]
	ds_bpermute_b32 v6, v1, v2
	ds_bpermute_b32 v7, v1, v3
	ds_bpermute_b32 v8, v1, v4
	ds_bpermute_b32 v9, v1, v5
	v_cndmask_b32_e64 v3, -v3, v3, s[4:5]
	v_cndmask_b32_e64 v2, -v2, v2, s[4:5]
	v_cndmask_b32_e64 v5, -v5, v5, s[4:5]
	v_cndmask_b32_e64 v4, -v4, v4, s[4:5]
	s_waitcnt lgkmcnt(0)
	v_pk_add_f32 v[4:5], v[4:5], v[8:9]
	v_pk_add_f32 v[2:3], v[2:3], v[6:7]
	ds_write_b128 v39, v[2:5] offset:4096
	v_cndmask_b32_e64 v3, -v13, v13, s[2:3]
	v_cndmask_b32_e64 v2, -v12, v12, s[2:3]
	v_cndmask_b32_e64 v5, -v15, v15, s[2:3]
	v_cndmask_b32_e64 v4, -v14, v14, s[2:3]
	v_pk_add_f32 v[4:5], v[4:5], v[32:33]
	v_pk_add_f32 v[2:3], v[2:3], v[30:31]
	ds_bpermute_b32 v6, v1, v2
	ds_bpermute_b32 v7, v1, v3
	ds_bpermute_b32 v8, v1, v4
	ds_bpermute_b32 v9, v1, v5
	v_cndmask_b32_e64 v3, -v3, v3, s[4:5]
	v_cndmask_b32_e64 v2, -v2, v2, s[4:5]
	v_cndmask_b32_e64 v5, -v5, v5, s[4:5]
	v_cndmask_b32_e64 v4, -v4, v4, s[4:5]
	s_waitcnt lgkmcnt(0)
	v_pk_add_f32 v[4:5], v[4:5], v[8:9]
	v_pk_add_f32 v[2:3], v[2:3], v[6:7]
	ds_write_b128 v39, v[2:5] offset:8192
	;; [unrolled: 18-line block ×3, first 2 shown]
	s_waitcnt lgkmcnt(0)
	s_barrier
	ds_read_b128 v[8:11], v38
	ds_read_b128 v[0:3], v38 offset:4096
	ds_read_b128 v[12:15], v38 offset:8192
	;; [unrolled: 1-line block ×3, first 2 shown]
	s_mul_i32 s2, s14, s7
	s_mul_hi_u32 s3, s14, s6
	s_add_i32 s2, s3, s2
	s_mul_i32 s3, s15, s6
	s_add_i32 s3, s2, s3
	s_mul_i32 s2, s14, s6
	s_lshl_b64 s[2:3], s[2:3], 1
	s_add_u32 s2, s12, s2
	s_addc_u32 s3, s13, s3
	s_mov_b32 s17, s16
	s_mov_b32 s4, s16
	;; [unrolled: 1-line block ×3, first 2 shown]
	s_and_saveexec_b64 s[6:7], s[0:1]
	s_cbranch_execnz .LBB22_7
; %bb.5:
	s_or_b64 exec, exec, s[6:7]
	s_and_saveexec_b64 s[0:1], vcc
	s_cbranch_execnz .LBB22_8
.LBB22_6:
	s_endpgm
.LBB22_7:
	s_waitcnt lgkmcnt(1)
	v_pk_add_f32 v[16:17], v[10:11], v[14:15]
	v_pk_mul_f32 v[16:17], s[4:5], v[16:17]
	v_pk_add_f32 v[20:21], v[8:9], v[12:13]
	v_cvt_f16_f32_e32 v24, v17
	v_cvt_f16_f32_e32 v25, v16
	s_waitcnt lgkmcnt(0)
	v_pk_add_f32 v[16:17], v[2:3], v[6:7]
	v_pk_add_f32 v[22:23], v[0:1], v[4:5]
	v_pk_mul_f32 v[20:21], s[16:17], v[20:21]
	v_pk_mul_f32 v[16:17], s[4:5], v[16:17]
	;; [unrolled: 1-line block ×3, first 2 shown]
	v_cvt_f16_f32_e32 v26, v21
	v_cvt_f16_f32_e32 v17, v17
	;; [unrolled: 1-line block ×6, first 2 shown]
	v_pack_b32_f16 v23, v16, v17
	v_pack_b32_f16 v21, v25, v24
	;; [unrolled: 1-line block ×4, first 2 shown]
	global_store_dwordx4 v19, v[20:23], s[2:3]
	s_or_b64 exec, exec, s[6:7]
	s_and_saveexec_b64 s[0:1], vcc
	s_cbranch_execz .LBB22_6
.LBB22_8:
	s_waitcnt lgkmcnt(1)
	v_sub_f32_e32 v9, v9, v13
	v_sub_f32_e32 v8, v8, v12
	;; [unrolled: 1-line block ×4, first 2 shown]
	s_waitcnt lgkmcnt(0)
	v_sub_f32_e32 v1, v1, v5
	v_sub_f32_e32 v0, v0, v4
	;; [unrolled: 1-line block ×4, first 2 shown]
	v_pk_mul_f32 v[10:11], s[4:5], v[10:11]
	v_pk_mul_f32 v[8:9], s[16:17], v[8:9]
	;; [unrolled: 1-line block ×4, first 2 shown]
	v_cvt_f16_f32_e32 v9, v9
	v_cvt_f16_f32_e32 v11, v11
	;; [unrolled: 1-line block ×8, first 2 shown]
	v_pack_b32_f16 v3, v2, v3
	v_pack_b32_f16 v2, v0, v1
	;; [unrolled: 1-line block ×4, first 2 shown]
	global_store_dwordx4 v18, v[0:3], s[2:3]
	s_endpgm
	.section	.rodata,"a",@progbits
	.p2align	6, 0x0
	.amdhsa_kernel _Z30fast_hadamard_transform_kernelI37fast_hadamard_transform_kernel_traitsILi256ELi12E6__halfEEv18HadamardParamsBase
		.amdhsa_group_segment_fixed_size 0
		.amdhsa_private_segment_fixed_size 0
		.amdhsa_kernarg_size 312
		.amdhsa_user_sgpr_count 6
		.amdhsa_user_sgpr_private_segment_buffer 1
		.amdhsa_user_sgpr_dispatch_ptr 0
		.amdhsa_user_sgpr_queue_ptr 0
		.amdhsa_user_sgpr_kernarg_segment_ptr 1
		.amdhsa_user_sgpr_dispatch_id 0
		.amdhsa_user_sgpr_flat_scratch_init 0
		.amdhsa_user_sgpr_kernarg_preload_length 0
		.amdhsa_user_sgpr_kernarg_preload_offset 0
		.amdhsa_user_sgpr_private_segment_size 0
		.amdhsa_uses_dynamic_stack 0
		.amdhsa_system_sgpr_private_segment_wavefront_offset 0
		.amdhsa_system_sgpr_workgroup_id_x 1
		.amdhsa_system_sgpr_workgroup_id_y 0
		.amdhsa_system_sgpr_workgroup_id_z 0
		.amdhsa_system_sgpr_workgroup_info 0
		.amdhsa_system_vgpr_workitem_id 0
		.amdhsa_next_free_vgpr 43
		.amdhsa_next_free_sgpr 20
		.amdhsa_accum_offset 44
		.amdhsa_reserve_vcc 1
		.amdhsa_reserve_flat_scratch 0
		.amdhsa_float_round_mode_32 0
		.amdhsa_float_round_mode_16_64 0
		.amdhsa_float_denorm_mode_32 3
		.amdhsa_float_denorm_mode_16_64 3
		.amdhsa_dx10_clamp 1
		.amdhsa_ieee_mode 1
		.amdhsa_fp16_overflow 0
		.amdhsa_tg_split 0
		.amdhsa_exception_fp_ieee_invalid_op 0
		.amdhsa_exception_fp_denorm_src 0
		.amdhsa_exception_fp_ieee_div_zero 0
		.amdhsa_exception_fp_ieee_overflow 0
		.amdhsa_exception_fp_ieee_underflow 0
		.amdhsa_exception_fp_ieee_inexact 0
		.amdhsa_exception_int_div_zero 0
	.end_amdhsa_kernel
	.section	.text._Z30fast_hadamard_transform_kernelI37fast_hadamard_transform_kernel_traitsILi256ELi12E6__halfEEv18HadamardParamsBase,"axG",@progbits,_Z30fast_hadamard_transform_kernelI37fast_hadamard_transform_kernel_traitsILi256ELi12E6__halfEEv18HadamardParamsBase,comdat
.Lfunc_end22:
	.size	_Z30fast_hadamard_transform_kernelI37fast_hadamard_transform_kernel_traitsILi256ELi12E6__halfEEv18HadamardParamsBase, .Lfunc_end22-_Z30fast_hadamard_transform_kernelI37fast_hadamard_transform_kernel_traitsILi256ELi12E6__halfEEv18HadamardParamsBase
                                        ; -- End function
	.section	.AMDGPU.csdata,"",@progbits
; Kernel info:
; codeLenInByte = 4336
; NumSgprs: 24
; NumVgprs: 43
; NumAgprs: 0
; TotalNumVgprs: 43
; ScratchSize: 0
; MemoryBound: 0
; FloatMode: 240
; IeeeMode: 1
; LDSByteSize: 0 bytes/workgroup (compile time only)
; SGPRBlocks: 2
; VGPRBlocks: 5
; NumSGPRsForWavesPerEU: 24
; NumVGPRsForWavesPerEU: 43
; AccumOffset: 44
; Occupancy: 8
; WaveLimiterHint : 0
; COMPUTE_PGM_RSRC2:SCRATCH_EN: 0
; COMPUTE_PGM_RSRC2:USER_SGPR: 6
; COMPUTE_PGM_RSRC2:TRAP_HANDLER: 0
; COMPUTE_PGM_RSRC2:TGID_X_EN: 1
; COMPUTE_PGM_RSRC2:TGID_Y_EN: 0
; COMPUTE_PGM_RSRC2:TGID_Z_EN: 0
; COMPUTE_PGM_RSRC2:TIDIG_COMP_CNT: 0
; COMPUTE_PGM_RSRC3_GFX90A:ACCUM_OFFSET: 10
; COMPUTE_PGM_RSRC3_GFX90A:TG_SPLIT: 0
	.section	.text._Z30fast_hadamard_transform_kernelI37fast_hadamard_transform_kernel_traitsILi256ELi13E6__halfEEv18HadamardParamsBase,"axG",@progbits,_Z30fast_hadamard_transform_kernelI37fast_hadamard_transform_kernel_traitsILi256ELi13E6__halfEEv18HadamardParamsBase,comdat
	.protected	_Z30fast_hadamard_transform_kernelI37fast_hadamard_transform_kernel_traitsILi256ELi13E6__halfEEv18HadamardParamsBase ; -- Begin function _Z30fast_hadamard_transform_kernelI37fast_hadamard_transform_kernel_traitsILi256ELi13E6__halfEEv18HadamardParamsBase
	.globl	_Z30fast_hadamard_transform_kernelI37fast_hadamard_transform_kernel_traitsILi256ELi13E6__halfEEv18HadamardParamsBase
	.p2align	8
	.type	_Z30fast_hadamard_transform_kernelI37fast_hadamard_transform_kernel_traitsILi256ELi13E6__halfEEv18HadamardParamsBase,@function
_Z30fast_hadamard_transform_kernelI37fast_hadamard_transform_kernel_traitsILi256ELi13E6__halfEEv18HadamardParamsBase: ; @_Z30fast_hadamard_transform_kernelI37fast_hadamard_transform_kernel_traitsILi256ELi13E6__halfEEv18HadamardParamsBase
; %bb.0:
	s_load_dwordx8 s[16:23], s[4:5], 0x10
	s_load_dword s10, s[4:5], 0x4
	s_ashr_i32 s7, s6, 31
	s_load_dword s2, s[4:5], 0x44
	v_lshlrev_b32_e32 v1, 3, v0
	s_waitcnt lgkmcnt(0)
	s_mul_hi_u32 s0, s16, s6
	s_mul_i32 s1, s16, s7
	s_add_i32 s0, s0, s1
	s_mul_i32 s1, s17, s6
	s_add_i32 s1, s0, s1
	s_mul_i32 s0, s16, s6
	s_lshl_b64 s[0:1], s[0:1], 1
	s_add_u32 s8, s22, s0
	s_addc_u32 s9, s23, s1
	v_cmp_gt_u32_e64 s[16:17], s10, v1
	v_mov_b32_e32 v2, 0
	v_lshlrev_b32_e32 v51, 4, v0
	v_mov_b32_e32 v4, 0
	v_mov_b32_e32 v5, 0
	;; [unrolled: 1-line block ×8, first 2 shown]
	s_and_saveexec_b64 s[0:1], s[16:17]
	s_cbranch_execz .LBB23_2
; %bb.1:
	global_load_dwordx4 v[12:15], v51, s[8:9]
	s_waitcnt vmcnt(0)
	v_cvt_f32_f16_e32 v10, v12
	v_cvt_f32_f16_sdwa v11, v12 dst_sel:DWORD dst_unused:UNUSED_PAD src0_sel:WORD_1
	v_cvt_f32_f16_e32 v8, v13
	v_cvt_f32_f16_sdwa v9, v13 dst_sel:DWORD dst_unused:UNUSED_PAD src0_sel:WORD_1
	;; [unrolled: 2-line block ×4, first 2 shown]
.LBB23_2:
	s_or_b64 exec, exec, s[0:1]
	s_and_b32 s11, 0xffff, s2
	v_add_u32_e32 v1, s11, v0
	v_lshlrev_b32_e32 v3, 3, v1
	v_cmp_gt_u32_e64 s[0:1], s10, v3
	v_lshlrev_b32_e32 v50, 4, v1
	v_mov_b32_e32 v3, 0
	v_mov_b32_e32 v14, 0
	;; [unrolled: 1-line block ×7, first 2 shown]
	s_and_saveexec_b64 s[2:3], s[0:1]
	s_cbranch_execz .LBB23_4
; %bb.3:
	global_load_dwordx4 v[20:23], v50, s[8:9]
	s_waitcnt vmcnt(0)
	v_cvt_f32_f16_e32 v18, v20
	v_cvt_f32_f16_sdwa v19, v20 dst_sel:DWORD dst_unused:UNUSED_PAD src0_sel:WORD_1
	v_cvt_f32_f16_e32 v16, v21
	v_cvt_f32_f16_sdwa v17, v21 dst_sel:DWORD dst_unused:UNUSED_PAD src0_sel:WORD_1
	;; [unrolled: 2-line block ×4, first 2 shown]
.LBB23_4:
	s_or_b64 exec, exec, s[2:3]
	s_load_dwordx2 s[22:23], s[4:5], 0x30
	v_add_u32_e32 v1, s11, v1
	v_lshlrev_b32_e32 v12, 3, v1
	v_cmp_gt_u32_e64 s[2:3], s10, v12
	v_mov_b32_e32 v12, 0
	v_lshlrev_b32_e32 v49, 4, v1
	v_mov_b32_e32 v20, 0
	v_mov_b32_e32 v21, 0
	;; [unrolled: 1-line block ×8, first 2 shown]
	s_and_saveexec_b64 s[4:5], s[2:3]
	s_cbranch_execz .LBB23_6
; %bb.5:
	global_load_dwordx4 v[20:23], v49, s[8:9]
	s_waitcnt vmcnt(0)
	v_cvt_f32_f16_e32 v32, v20
	v_cvt_f32_f16_sdwa v33, v20 dst_sel:DWORD dst_unused:UNUSED_PAD src0_sel:WORD_1
	v_cvt_f32_f16_e32 v30, v21
	v_cvt_f32_f16_sdwa v31, v21 dst_sel:DWORD dst_unused:UNUSED_PAD src0_sel:WORD_1
	v_cvt_f32_f16_e32 v28, v22
	v_cvt_f32_f16_sdwa v29, v22 dst_sel:DWORD dst_unused:UNUSED_PAD src0_sel:WORD_1
	v_cvt_f32_f16_e32 v20, v23
	v_cvt_f32_f16_sdwa v21, v23 dst_sel:DWORD dst_unused:UNUSED_PAD src0_sel:WORD_1
.LBB23_6:
	s_or_b64 exec, exec, s[4:5]
	v_add_u32_e32 v1, s11, v1
	v_lshlrev_b32_e32 v13, 3, v1
	v_cmp_gt_u32_e32 vcc, s10, v13
	v_lshlrev_b32_e32 v48, 4, v1
	v_mov_b32_e32 v24, 0
	v_mov_b32_e32 v22, 0
	;; [unrolled: 1-line block ×7, first 2 shown]
	s_and_saveexec_b64 s[4:5], vcc
	s_cbranch_execz .LBB23_8
; %bb.7:
	global_load_dwordx4 v[34:37], v48, s[8:9]
	s_waitcnt vmcnt(0)
	v_cvt_f32_f16_e32 v23, v34
	v_cvt_f32_f16_sdwa v27, v34 dst_sel:DWORD dst_unused:UNUSED_PAD src0_sel:WORD_1
	v_cvt_f32_f16_e32 v13, v35
	v_cvt_f32_f16_sdwa v25, v35 dst_sel:DWORD dst_unused:UNUSED_PAD src0_sel:WORD_1
	;; [unrolled: 2-line block ×4, first 2 shown]
.LBB23_8:
	s_or_b64 exec, exec, s[4:5]
	v_mov_b32_e32 v34, v11
	v_pk_add_f32 v[36:37], v[34:35], v[10:11] op_sel_hi:[0,1]
	v_pk_add_f32 v[10:11], v[10:11], v[34:35] op_sel_hi:[1,0] neg_lo:[0,1] neg_hi:[0,1]
	v_mov_b32_e32 v34, v19
	v_pk_add_f32 v[38:39], v[34:35], v[18:19] op_sel_hi:[0,1]
	v_pk_add_f32 v[18:19], v[18:19], v[34:35] op_sel_hi:[1,0] neg_lo:[0,1] neg_hi:[0,1]
	;; [unrolled: 3-line block ×12, first 2 shown]
	v_pk_add_f32 v[34:35], v[42:43], v[36:37]
	v_pk_add_f32 v[36:37], v[36:37], v[42:43] neg_lo:[0,1] neg_hi:[0,1]
	v_pk_add_f32 v[42:43], v[44:45], v[38:39]
	v_pk_add_f32 v[38:39], v[38:39], v[44:45] neg_lo:[0,1] neg_hi:[0,1]
	v_pk_add_f32 v[44:45], v[46:47], v[40:41]
	v_pk_add_f32 v[40:41], v[40:41], v[46:47] neg_lo:[0,1] neg_hi:[0,1]
	v_pk_add_f32 v[46:47], v[8:9], v[10:11]
	v_pk_add_f32 v[8:9], v[10:11], v[8:9] neg_lo:[0,1] neg_hi:[0,1]
	v_pk_add_f32 v[10:11], v[16:17], v[18:19]
	v_pk_add_f32 v[16:17], v[18:19], v[16:17] neg_lo:[0,1] neg_hi:[0,1]
	v_pk_add_f32 v[18:19], v[30:31], v[32:33]
	v_pk_add_f32 v[30:31], v[32:33], v[30:31] neg_lo:[0,1] neg_hi:[0,1]
	v_pk_add_f32 v[32:33], v[58:59], v[52:53]
	v_pk_add_f32 v[52:53], v[52:53], v[58:59] neg_lo:[0,1] neg_hi:[0,1]
	v_pk_add_f32 v[58:59], v[60:61], v[54:55]
	v_pk_add_f32 v[54:55], v[54:55], v[60:61] neg_lo:[0,1] neg_hi:[0,1]
	v_pk_add_f32 v[60:61], v[62:63], v[56:57]
	v_pk_add_f32 v[56:57], v[56:57], v[62:63] neg_lo:[0,1] neg_hi:[0,1]
	v_pk_add_f32 v[62:63], v[26:27], v[22:23]
	v_pk_add_f32 v[64:65], v[24:25], v[12:13]
	v_pk_add_f32 v[22:23], v[22:23], v[26:27] neg_lo:[0,1] neg_hi:[0,1]
	v_pk_add_f32 v[12:13], v[12:13], v[24:25] neg_lo:[0,1] neg_hi:[0,1]
	v_pk_add_f32 v[66:67], v[64:65], v[62:63]
	v_pk_add_f32 v[62:63], v[62:63], v[64:65] neg_lo:[0,1] neg_hi:[0,1]
	v_pk_add_f32 v[64:65], v[4:5], v[6:7]
	;; [unrolled: 2-line block ×3, first 2 shown]
	v_pk_add_f32 v[24:25], v[12:13], v[22:23]
	v_and_b32_e32 v1, 1, v0
	v_pk_add_f32 v[2:3], v[14:15], v[2:3] neg_lo:[0,1] neg_hi:[0,1]
	v_pk_add_f32 v[14:15], v[20:21], v[28:29]
	v_pk_add_f32 v[20:21], v[28:29], v[20:21] neg_lo:[0,1] neg_hi:[0,1]
	v_pk_add_f32 v[12:13], v[22:23], v[12:13] neg_lo:[0,1] neg_hi:[0,1]
	v_pk_add_f32 v[22:23], v[32:33], v[34:35]
	v_pk_add_f32 v[26:27], v[34:35], v[32:33] neg_lo:[0,1] neg_hi:[0,1]
	v_pk_add_f32 v[28:29], v[58:59], v[42:43]
	;; [unrolled: 2-line block ×3, first 2 shown]
	v_pk_add_f32 v[42:43], v[44:45], v[60:61] neg_lo:[0,1] neg_hi:[0,1]
	v_mov_b32_e32 v44, v67
	v_pk_add_f32 v[60:61], v[64:65], v[46:47]
	v_pk_add_f32 v[46:47], v[46:47], v[64:65] neg_lo:[0,1] neg_hi:[0,1]
	v_pk_add_f32 v[64:65], v[6:7], v[10:11]
	v_pk_add_f32 v[10:11], v[10:11], v[6:7] neg_lo:[0,1] neg_hi:[0,1]
	v_mov_b32_e32 v6, v25
	v_cmp_eq_u32_e64 s[4:5], 0, v1
	v_mbcnt_lo_u32_b32 v1, -1, 0
	v_pk_add_f32 v[58:59], v[66:67], v[44:45]
	v_pk_add_f32 v[44:45], v[44:45], v[66:67] neg_lo:[0,1] neg_hi:[0,1]
	v_pk_add_f32 v[66:67], v[14:15], v[18:19]
	v_pk_add_f32 v[14:15], v[18:19], v[14:15] neg_lo:[0,1] neg_hi:[0,1]
	;; [unrolled: 2-line block ×3, first 2 shown]
	v_mov_b32_e32 v6, v63
	v_pk_add_f32 v[70:71], v[4:5], v[8:9]
	v_pk_add_f32 v[4:5], v[8:9], v[4:5] neg_lo:[0,1] neg_hi:[0,1]
	v_pk_add_f32 v[8:9], v[2:3], v[16:17]
	v_pk_add_f32 v[2:3], v[16:17], v[2:3] neg_lo:[0,1] neg_hi:[0,1]
	v_mbcnt_hi_u32_b32 v1, -1, v1
	v_pk_add_f32 v[68:69], v[52:53], v[36:37]
	v_pk_add_f32 v[36:37], v[36:37], v[52:53] neg_lo:[0,1] neg_hi:[0,1]
	v_pk_add_f32 v[52:53], v[54:55], v[38:39]
	v_pk_add_f32 v[38:39], v[38:39], v[54:55] neg_lo:[0,1] neg_hi:[0,1]
	;; [unrolled: 2-line block ×4, first 2 shown]
	v_mov_b32_e32 v6, v13
	v_and_b32_e32 v3, 64, v1
	v_pk_add_f32 v[16:17], v[20:21], v[30:31]
	v_pk_add_f32 v[20:21], v[30:31], v[20:21] neg_lo:[0,1] neg_hi:[0,1]
	v_pk_add_f32 v[30:31], v[12:13], v[6:7]
	v_pk_add_f32 v[12:13], v[6:7], v[12:13] neg_lo:[0,1] neg_hi:[0,1]
	v_add_u32_e32 v6, 64, v3
	v_xor_b32_e32 v3, 1, v1
	v_cmp_lt_i32_e64 s[8:9], v3, v6
	v_cndmask_b32_e64 v3, v1, v3, s[8:9]
	v_lshlrev_b32_e32 v23, 2, v3
	ds_bpermute_b32 v3, v23, v22
	v_cndmask_b32_e64 v5, -v22, v22, s[4:5]
	ds_bpermute_b32 v9, v23, v68
	v_cndmask_b32_e64 v7, -v60, v60, s[4:5]
	v_cndmask_b32_e64 v11, -v68, v68, s[4:5]
	s_waitcnt lgkmcnt(0)
	v_add_f32_e32 v3, v5, v3
	ds_bpermute_b32 v5, v23, v60
	v_add_f32_e32 v9, v11, v9
	ds_bpermute_b32 v11, v23, v26
	v_cndmask_b32_e64 v13, -v70, v70, s[4:5]
	v_cndmask_b32_e64 v15, -v26, v26, s[4:5]
	s_waitcnt lgkmcnt(1)
	v_add_f32_e32 v5, v7, v5
	ds_bpermute_b32 v7, v23, v70
	s_waitcnt lgkmcnt(1)
	v_add_f32_e32 v11, v15, v11
	ds_bpermute_b32 v15, v23, v36
	v_cndmask_b32_e64 v17, -v46, v46, s[4:5]
	v_cndmask_b32_e64 v19, -v36, v36, s[4:5]
	s_waitcnt lgkmcnt(1)
	v_add_f32_e32 v7, v13, v7
	ds_bpermute_b32 v13, v23, v46
	s_waitcnt lgkmcnt(1)
	v_add_f32_e32 v15, v19, v15
	ds_bpermute_b32 v19, v23, v28
	v_cndmask_b32_e64 v21, -v28, v28, s[4:5]
	v_cndmask_b32_e64 v22, -v64, v64, s[4:5]
	s_waitcnt lgkmcnt(1)
	v_add_f32_e32 v13, v17, v13
	ds_bpermute_b32 v17, v23, v4
	v_cndmask_b32_e64 v4, -v4, v4, s[4:5]
	s_waitcnt lgkmcnt(1)
	v_add_f32_e32 v19, v21, v19
	ds_bpermute_b32 v21, v23, v52
	;; [unrolled: 4-line block ×18, first 2 shown]
	ds_bpermute_b32 v36, v23, v24
	s_waitcnt lgkmcnt(2)
	v_add_f32_e32 v20, v20, v22
	ds_bpermute_b32 v22, v23, v18
	v_cndmask_b32_e64 v18, -v18, v18, s[4:5]
	s_waitcnt lgkmcnt(2)
	v_add_f32_e32 v34, v35, v34
	ds_bpermute_b32 v35, v23, v44
	v_cndmask_b32_e64 v24, -v24, v24, s[4:5]
	s_waitcnt lgkmcnt(1)
	v_add_f32_e32 v18, v18, v22
	ds_bpermute_b32 v22, v23, v30
	v_cndmask_b32_e64 v30, -v30, v30, s[4:5]
	ds_bpermute_b32 v37, v23, v12
	v_add_f32_e32 v24, v24, v36
	v_cndmask_b32_e64 v36, -v62, v62, s[4:5]
	s_waitcnt lgkmcnt(1)
	v_add_f32_e32 v30, v30, v22
	v_cndmask_b32_e64 v22, -v44, v44, s[4:5]
	v_add_f32_e32 v35, v22, v35
	ds_bpermute_b32 v22, v23, v62
	v_cndmask_b32_e64 v12, -v12, v12, s[4:5]
	s_waitcnt lgkmcnt(1)
	v_add_f32_e32 v12, v12, v37
	v_and_b32_e32 v38, 2, v0
	s_waitcnt lgkmcnt(0)
	v_add_f32_e32 v36, v36, v22
	v_xor_b32_e32 v22, 2, v1
	v_cmp_lt_i32_e64 s[8:9], v22, v6
	v_cndmask_b32_e64 v22, v1, v22, s[8:9]
	v_lshlrev_b32_e32 v22, 2, v22
	ds_bpermute_b32 v37, v22, v3
	v_cmp_eq_u32_e64 s[8:9], 0, v38
	v_cndmask_b32_e64 v3, -v3, v3, s[8:9]
	ds_bpermute_b32 v38, v22, v7
	v_cndmask_b32_e64 v7, -v7, v7, s[8:9]
	s_waitcnt lgkmcnt(1)
	v_add_f32_e32 v3, v3, v37
	ds_bpermute_b32 v37, v22, v9
	v_cndmask_b32_e64 v9, -v9, v9, s[8:9]
	s_waitcnt lgkmcnt(1)
	v_add_f32_e32 v7, v7, v38
	;; [unrolled: 4-line block ×24, first 2 shown]
	ds_bpermute_b32 v38, v22, v30
	ds_bpermute_b32 v39, v22, v5
	s_waitcnt lgkmcnt(2)
	v_add_f32_e32 v33, v33, v37
	ds_bpermute_b32 v37, v22, v34
	v_cndmask_b32_e64 v34, -v34, v34, s[8:9]
	v_cndmask_b32_e64 v30, -v30, v30, s[8:9]
	s_waitcnt lgkmcnt(2)
	v_add_f32_e32 v30, v30, v38
	ds_bpermute_b32 v38, v22, v24
	s_waitcnt lgkmcnt(1)
	v_add_f32_e32 v34, v34, v37
	ds_bpermute_b32 v37, v22, v35
	v_cndmask_b32_e64 v35, -v35, v35, s[8:9]
	v_cndmask_b32_e64 v5, -v5, v5, s[8:9]
	v_add_f32_e32 v5, v5, v39
	ds_bpermute_b32 v39, v22, v12
	s_waitcnt lgkmcnt(1)
	v_add_f32_e32 v35, v35, v37
	ds_bpermute_b32 v37, v22, v36
	v_cndmask_b32_e64 v36, -v36, v36, s[8:9]
	v_cndmask_b32_e64 v24, -v24, v24, s[8:9]
	v_add_f32_e32 v24, v24, v38
	v_cndmask_b32_e64 v12, -v12, v12, s[8:9]
	s_waitcnt lgkmcnt(0)
	v_add_f32_e32 v36, v36, v37
	v_xor_b32_e32 v37, 4, v1
	v_cmp_lt_i32_e64 s[10:11], v37, v6
	v_cndmask_b32_e64 v37, v1, v37, s[10:11]
	v_lshlrev_b32_e32 v37, 2, v37
	ds_bpermute_b32 v38, v37, v3
	v_add_f32_e32 v12, v12, v39
	v_and_b32_e32 v39, 4, v0
	v_cmp_eq_u32_e64 s[10:11], 0, v39
	v_cndmask_b32_e64 v3, -v3, v3, s[10:11]
	s_waitcnt lgkmcnt(0)
	v_add_f32_e32 v3, v3, v38
	ds_bpermute_b32 v38, v37, v9
	ds_bpermute_b32 v39, v37, v7
	v_cndmask_b32_e64 v9, -v9, v9, s[10:11]
	ds_bpermute_b32 v40, v37, v5
	v_cndmask_b32_e64 v7, -v7, v7, s[10:11]
	s_waitcnt lgkmcnt(2)
	v_add_f32_e32 v38, v9, v38
	ds_bpermute_b32 v9, v37, v11
	v_cndmask_b32_e64 v5, -v5, v5, s[10:11]
	s_waitcnt lgkmcnt(2)
	v_add_f32_e32 v7, v7, v39
	;; [unrolled: 4-line block ×3, first 2 shown]
	s_waitcnt lgkmcnt(1)
	v_add_f32_e32 v40, v11, v9
	ds_bpermute_b32 v9, v37, v15
	v_cndmask_b32_e64 v11, -v13, v13, s[10:11]
	s_waitcnt lgkmcnt(1)
	v_add_f32_e32 v39, v11, v39
	ds_bpermute_b32 v11, v37, v4
	v_cndmask_b32_e64 v13, -v15, v15, s[10:11]
	;; [unrolled: 4-line block ×23, first 2 shown]
	s_waitcnt lgkmcnt(1)
	v_add_f32_e32 v62, v9, v2
	v_cndmask_b32_e64 v2, -v35, v35, s[10:11]
	ds_bpermute_b32 v9, v37, v24
	s_waitcnt lgkmcnt(1)
	v_add_f32_e32 v63, v2, v8
	ds_bpermute_b32 v2, v37, v36
	v_cndmask_b32_e64 v8, -v24, v24, s[10:11]
	ds_bpermute_b32 v10, v37, v12
	s_waitcnt lgkmcnt(2)
	v_add_f32_e32 v64, v8, v9
	v_cndmask_b32_e64 v8, -v36, v36, s[10:11]
	s_waitcnt lgkmcnt(1)
	v_add_f32_e32 v65, v8, v2
	v_xor_b32_e32 v8, 8, v1
	v_cndmask_b32_e64 v2, -v12, v12, s[10:11]
	v_cmp_lt_i32_e64 s[10:11], v8, v6
	v_cndmask_b32_e64 v8, v1, v8, s[10:11]
	v_lshlrev_b32_e32 v67, 2, v8
	ds_bpermute_b32 v8, v67, v3
	ds_bpermute_b32 v9, v67, v5
	s_waitcnt lgkmcnt(2)
	v_add_f32_e32 v66, v2, v10
	v_and_b32_e32 v2, 8, v0
	v_xor_b32_e32 v20, 16, v1
	v_cmp_eq_u32_e64 s[14:15], 0, v2
	v_cmp_lt_i32_e64 s[10:11], v20, v6
	v_cndmask_b32_e64 v10, -v3, v3, s[14:15]
	v_cndmask_b32_e64 v11, -v5, v5, s[14:15]
	v_cndmask_b32_e64 v20, v1, v20, s[10:11]
	v_lshlrev_b32_e32 v25, 2, v20
	s_waitcnt lgkmcnt(0)
	v_pk_add_f32 v[8:9], v[10:11], v[8:9]
	ds_bpermute_b32 v12, v67, v38
	ds_bpermute_b32 v13, v67, v7
	;; [unrolled: 1-line block ×4, first 2 shown]
	v_cndmask_b32_e64 v19, -v7, v7, s[14:15]
	v_and_b32_e32 v7, 16, v0
	v_cmp_eq_u32_e64 s[10:11], 0, v7
	v_xor_b32_e32 v7, 32, v1
	v_cndmask_b32_e64 v18, -v38, v38, s[14:15]
	v_cndmask_b32_e64 v9, -v9, v9, s[10:11]
	;; [unrolled: 1-line block ×3, first 2 shown]
	v_cmp_lt_i32_e64 s[12:13], v7, v6
	v_cndmask_b32_e64 v1, v1, v7, s[12:13]
	s_waitcnt lgkmcnt(0)
	v_pk_add_f32 v[6:7], v[8:9], v[10:11]
	v_pk_add_f32 v[10:11], v[18:19], v[12:13]
	ds_bpermute_b32 v12, v25, v10
	ds_bpermute_b32 v13, v25, v11
	;; [unrolled: 1-line block ×3, first 2 shown]
	v_cndmask_b32_e64 v32, -v15, v15, s[14:15]
	ds_bpermute_b32 v14, v67, v41
	ds_bpermute_b32 v15, v67, v17
	;; [unrolled: 1-line block ×4, first 2 shown]
	v_cndmask_b32_e64 v11, -v11, v11, s[10:11]
	v_cndmask_b32_e64 v10, -v10, v10, s[10:11]
	v_lshlrev_b32_e32 v1, 2, v1
	s_waitcnt lgkmcnt(5)
	v_pk_add_f32 v[10:11], v[10:11], v[12:13]
	ds_bpermute_b32 v31, v67, v4
	v_cndmask_b32_e64 v33, -v4, v4, s[14:15]
	v_cndmask_b32_e64 v16, -v41, v41, s[14:15]
	;; [unrolled: 1-line block ×5, first 2 shown]
	ds_bpermute_b32 v8, v1, v6
	ds_bpermute_b32 v9, v1, v7
	;; [unrolled: 1-line block ×4, first 2 shown]
	s_waitcnt lgkmcnt(7)
	v_pk_add_f32 v[14:15], v[16:17], v[14:15]
	s_waitcnt lgkmcnt(5)
	v_pk_add_f32 v[2:3], v[4:5], v[2:3]
	v_and_b32_e32 v20, 32, v0
	ds_bpermute_b32 v16, v25, v14
	ds_bpermute_b32 v17, v25, v15
	;; [unrolled: 1-line block ×6, first 2 shown]
	v_cmp_eq_u32_e64 s[12:13], 0, v20
	v_cndmask_b32_e64 v7, -v7, v7, s[12:13]
	v_cndmask_b32_e64 v6, -v6, v6, s[12:13]
	;; [unrolled: 1-line block ×4, first 2 shown]
	ds_bpermute_b32 v34, v67, v43
	ds_bpermute_b32 v35, v67, v44
	s_waitcnt lgkmcnt(10)
	v_pk_add_f32 v[6:7], v[6:7], v[8:9]
	s_waitcnt lgkmcnt(8)
	v_pk_add_f32 v[8:9], v[10:11], v[12:13]
	v_lshrrev_b32_e32 v10, 6, v0
	v_xor_b32_e32 v10, v10, v0
	v_cndmask_b32_e64 v15, -v15, v15, s[10:11]
	v_cndmask_b32_e64 v14, -v14, v14, s[10:11]
	;; [unrolled: 1-line block ×6, first 2 shown]
	v_lshl_add_u32 v24, v10, 4, 0
	s_waitcnt lgkmcnt(6)
	v_pk_add_f32 v[14:15], v[14:15], v[16:17]
	s_waitcnt lgkmcnt(4)
	v_pk_add_f32 v[2:3], v[2:3], v[4:5]
	v_cndmask_b32_e64 v36, -v43, v43, s[14:15]
	v_cndmask_b32_e64 v37, -v44, v44, s[14:15]
	s_barrier
	s_waitcnt lgkmcnt(0)
	ds_write_b128 v24, v[6:9]
	v_pk_add_f32 v[6:7], v[28:29], v[26:27]
	ds_bpermute_b32 v19, v67, v54
	v_cndmask_b32_e64 v21, -v54, v54, s[14:15]
	v_pk_add_f32 v[10:11], v[32:33], v[30:31]
	ds_bpermute_b32 v30, v67, v55
	v_cndmask_b32_e64 v32, -v55, v55, s[14:15]
	ds_bpermute_b32 v26, v1, v14
	ds_bpermute_b32 v27, v1, v15
	;; [unrolled: 1-line block ×4, first 2 shown]
	v_pk_add_f32 v[34:35], v[36:37], v[34:35]
	ds_bpermute_b32 v36, v25, v34
	ds_bpermute_b32 v37, v25, v35
	ds_bpermute_b32 v38, v67, v45
	ds_bpermute_b32 v39, v67, v46
	v_cndmask_b32_e64 v40, -v45, v45, s[14:15]
	v_cndmask_b32_e64 v41, -v46, v46, s[14:15]
	ds_bpermute_b32 v43, v67, v52
	v_cndmask_b32_e64 v45, -v52, v52, s[14:15]
	ds_bpermute_b32 v31, v67, v56
	;; [unrolled: 2-line block ×3, first 2 shown]
	v_cndmask_b32_e64 v52, -v57, v57, s[14:15]
	v_cndmask_b32_e64 v29, -v15, v15, s[12:13]
	;; [unrolled: 1-line block ×5, first 2 shown]
	s_waitcnt lgkmcnt(9)
	v_pk_add_f32 v[26:27], v[28:29], v[26:27]
	s_waitcnt lgkmcnt(7)
	v_pk_add_f32 v[28:29], v[56:57], v[54:55]
	ds_write_b128 v24, v[26:29] offset:8192
	v_cndmask_b32_e64 v27, -v35, v35, s[10:11]
	v_cndmask_b32_e64 v26, -v34, v34, s[10:11]
	s_waitcnt lgkmcnt(6)
	v_pk_add_f32 v[26:27], v[26:27], v[36:37]
	ds_bpermute_b32 v8, v25, v6
	ds_bpermute_b32 v9, v25, v7
	;; [unrolled: 1-line block ×4, first 2 shown]
	s_waitcnt lgkmcnt(8)
	v_pk_add_f32 v[34:35], v[40:41], v[38:39]
	ds_bpermute_b32 v36, v25, v34
	ds_bpermute_b32 v37, v25, v35
	;; [unrolled: 1-line block ×5, first 2 shown]
	v_cndmask_b32_e64 v7, -v7, v7, s[10:11]
	v_cndmask_b32_e64 v6, -v6, v6, s[10:11]
	;; [unrolled: 1-line block ×4, first 2 shown]
	s_waitcnt lgkmcnt(7)
	v_pk_add_f32 v[6:7], v[6:7], v[8:9]
	s_waitcnt lgkmcnt(5)
	v_pk_add_f32 v[26:27], v[26:27], v[28:29]
	v_cndmask_b32_e64 v29, -v35, v35, s[10:11]
	v_cndmask_b32_e64 v28, -v34, v34, s[10:11]
	ds_bpermute_b32 v8, v1, v6
	ds_bpermute_b32 v9, v1, v7
	s_waitcnt lgkmcnt(5)
	v_pk_add_f32 v[28:29], v[28:29], v[36:37]
	v_cndmask_b32_e64 v44, -v47, v47, s[14:15]
	v_cndmask_b32_e64 v11, -v11, v11, s[10:11]
	;; [unrolled: 1-line block ×3, first 2 shown]
	ds_bpermute_b32 v34, v1, v28
	ds_bpermute_b32 v35, v1, v29
	;; [unrolled: 1-line block ×3, first 2 shown]
	s_waitcnt lgkmcnt(5)
	v_pk_add_f32 v[10:11], v[10:11], v[12:13]
	v_pk_add_f32 v[36:37], v[44:45], v[42:43]
	ds_bpermute_b32 v12, v1, v10
	ds_bpermute_b32 v13, v1, v11
	;; [unrolled: 1-line block ×4, first 2 shown]
	v_cndmask_b32_e64 v7, -v7, v7, s[12:13]
	v_cndmask_b32_e64 v6, -v6, v6, s[12:13]
	s_waitcnt lgkmcnt(7)
	v_pk_add_f32 v[8:9], v[6:7], v[8:9]
	ds_bpermute_b32 v6, v67, v59
	ds_bpermute_b32 v7, v67, v60
	v_cndmask_b32_e64 v29, -v29, v29, s[12:13]
	v_cndmask_b32_e64 v28, -v28, v28, s[12:13]
	;; [unrolled: 1-line block ×3, first 2 shown]
	s_waitcnt lgkmcnt(7)
	v_pk_add_f32 v[28:29], v[28:29], v[34:35]
	v_cndmask_b32_e64 v11, -v11, v11, s[12:13]
	v_cndmask_b32_e64 v10, -v10, v10, s[12:13]
	ds_write_b128 v24, v[26:29] offset:12288
	v_cndmask_b32_e64 v27, -v37, v37, s[10:11]
	v_cndmask_b32_e64 v26, -v36, v36, s[10:11]
	s_waitcnt lgkmcnt(7)
	v_pk_add_f32 v[20:21], v[20:21], v[18:19]
	s_waitcnt lgkmcnt(5)
	v_pk_add_f32 v[10:11], v[10:11], v[12:13]
	;; [unrolled: 2-line block ×3, first 2 shown]
	ds_bpermute_b32 v34, v25, v20
	ds_bpermute_b32 v35, v25, v21
	v_cndmask_b32_e64 v12, -v59, v59, s[14:15]
	v_cndmask_b32_e64 v13, -v60, v60, s[14:15]
	ds_write_b128 v24, v[8:11] offset:4096
	ds_bpermute_b32 v8, v67, v61
	ds_bpermute_b32 v9, v67, v62
	;; [unrolled: 1-line block ×4, first 2 shown]
	s_waitcnt lgkmcnt(8)
	v_pk_add_f32 v[6:7], v[12:13], v[6:7]
	ds_bpermute_b32 v12, v25, v6
	ds_bpermute_b32 v13, v25, v7
	v_cndmask_b32_e64 v21, -v21, v21, s[10:11]
	v_cndmask_b32_e64 v20, -v20, v20, s[10:11]
	;; [unrolled: 1-line block ×6, first 2 shown]
	s_waitcnt lgkmcnt(7)
	v_pk_add_f32 v[20:21], v[20:21], v[34:35]
	s_waitcnt lgkmcnt(2)
	v_pk_add_f32 v[18:19], v[26:27], v[28:29]
	ds_bpermute_b32 v26, v1, v20
	ds_bpermute_b32 v27, v1, v21
	v_pk_add_f32 v[8:9], v[10:11], v[8:9]
	v_pk_add_f32 v[28:29], v[32:33], v[30:31]
	v_cndmask_b32_e64 v7, -v7, v7, s[10:11]
	v_cndmask_b32_e64 v6, -v6, v6, s[10:11]
	ds_bpermute_b32 v10, v25, v8
	ds_bpermute_b32 v11, v25, v9
	;; [unrolled: 1-line block ×4, first 2 shown]
	s_waitcnt lgkmcnt(6)
	v_pk_add_f32 v[6:7], v[6:7], v[12:13]
	ds_bpermute_b32 v47, v67, v58
	ds_bpermute_b32 v14, v67, v63
	;; [unrolled: 1-line block ×7, first 2 shown]
	v_cndmask_b32_e64 v21, -v21, v21, s[12:13]
	v_cndmask_b32_e64 v20, -v20, v20, s[12:13]
	s_waitcnt lgkmcnt(11)
	v_pk_add_f32 v[20:21], v[20:21], v[26:27]
	v_cndmask_b32_e64 v9, -v9, v9, s[10:11]
	v_cndmask_b32_e64 v8, -v8, v8, s[10:11]
	ds_write_b128 v24, v[18:21] offset:16384
	v_cndmask_b32_e64 v19, -v29, v29, s[10:11]
	v_cndmask_b32_e64 v18, -v28, v28, s[10:11]
	s_waitcnt lgkmcnt(10)
	v_pk_add_f32 v[8:9], v[8:9], v[10:11]
	v_cndmask_b32_e64 v53, -v58, v58, s[14:15]
	v_cndmask_b32_e64 v16, -v63, v63, s[14:15]
	;; [unrolled: 1-line block ×5, first 2 shown]
	s_waitcnt lgkmcnt(8)
	v_pk_add_f32 v[18:19], v[18:19], v[30:31]
	v_cndmask_b32_e64 v7, -v7, v7, s[12:13]
	v_cndmask_b32_e64 v6, -v6, v6, s[12:13]
	ds_bpermute_b32 v10, v1, v8
	ds_bpermute_b32 v11, v1, v9
	;; [unrolled: 1-line block ×4, first 2 shown]
	s_waitcnt lgkmcnt(11)
	v_pk_add_f32 v[26:27], v[52:53], v[46:47]
	s_waitcnt lgkmcnt(5)
	v_pk_add_f32 v[6:7], v[6:7], v[12:13]
	v_pk_add_f32 v[12:13], v[16:17], v[14:15]
	v_pk_add_f32 v[2:3], v[4:5], v[2:3]
	ds_bpermute_b32 v28, v25, v26
	ds_bpermute_b32 v29, v25, v27
	;; [unrolled: 1-line block ×6, first 2 shown]
	v_cndmask_b32_e64 v9, -v9, v9, s[12:13]
	v_cndmask_b32_e64 v8, -v8, v8, s[12:13]
	;; [unrolled: 1-line block ×4, first 2 shown]
	s_waitcnt lgkmcnt(8)
	v_pk_add_f32 v[8:9], v[8:9], v[10:11]
	s_waitcnt lgkmcnt(6)
	v_pk_add_f32 v[18:19], v[18:19], v[20:21]
	v_cndmask_b32_e64 v21, -v27, v27, s[10:11]
	v_cndmask_b32_e64 v20, -v26, v26, s[10:11]
	ds_write_b128 v24, v[6:9] offset:24576
	v_cndmask_b32_e64 v7, -v13, v13, s[10:11]
	v_cndmask_b32_e64 v6, -v12, v12, s[10:11]
	;; [unrolled: 1-line block ×4, first 2 shown]
	s_waitcnt lgkmcnt(5)
	v_pk_add_f32 v[20:21], v[20:21], v[28:29]
	s_waitcnt lgkmcnt(3)
	v_pk_add_f32 v[6:7], v[6:7], v[14:15]
	;; [unrolled: 2-line block ×3, first 2 shown]
	ds_bpermute_b32 v26, v1, v20
	ds_bpermute_b32 v27, v1, v21
	;; [unrolled: 1-line block ×6, first 2 shown]
	v_and_b32_e32 v54, 3, v0
	v_lshrrev_b32_e32 v0, 2, v0
	v_lshl_or_b32 v0, v54, 6, v0
	v_cndmask_b32_e64 v21, -v21, v21, s[12:13]
	v_cndmask_b32_e64 v20, -v20, v20, s[12:13]
	;; [unrolled: 1-line block ×6, first 2 shown]
	v_xor_b32_e32 v0, v0, v54
	s_waitcnt lgkmcnt(4)
	v_pk_add_f32 v[20:21], v[20:21], v[26:27]
	s_waitcnt lgkmcnt(2)
	v_pk_add_f32 v[2:3], v[6:7], v[8:9]
	;; [unrolled: 2-line block ×3, first 2 shown]
	v_lshl_add_u32 v25, v0, 4, 0
	ds_write_b128 v24, v[18:21] offset:20480
	ds_write_b128 v24, v[2:5] offset:28672
	s_waitcnt lgkmcnt(0)
	s_barrier
	ds_read_b128 v[12:15], v25
	ds_read_b128 v[16:19], v25 offset:4096
	ds_read_b128 v[26:29], v25 offset:8192
	;; [unrolled: 1-line block ×7, first 2 shown]
	s_waitcnt lgkmcnt(7)
	ds_bpermute_b32 v20, v23, v12
	ds_bpermute_b32 v21, v23, v13
	;; [unrolled: 1-line block ×4, first 2 shown]
	v_cndmask_b32_e64 v13, -v13, v13, s[4:5]
	v_cndmask_b32_e64 v12, -v12, v12, s[4:5]
	;; [unrolled: 1-line block ×4, first 2 shown]
	s_waitcnt lgkmcnt(0)
	v_pk_add_f32 v[14:15], v[14:15], v[38:39]
	v_pk_add_f32 v[12:13], v[12:13], v[20:21]
	ds_bpermute_b32 v20, v22, v12
	ds_bpermute_b32 v21, v22, v13
	;; [unrolled: 1-line block ×8, first 2 shown]
	v_cndmask_b32_e64 v13, -v13, v13, s[8:9]
	v_cndmask_b32_e64 v12, -v12, v12, s[8:9]
	;; [unrolled: 1-line block ×4, first 2 shown]
	s_waitcnt lgkmcnt(4)
	v_pk_add_f32 v[14:15], v[14:15], v[38:39]
	v_pk_add_f32 v[12:13], v[12:13], v[20:21]
	s_waitcnt lgkmcnt(0)
	s_barrier
	ds_write_b128 v25, v[12:15]
	v_cndmask_b32_e64 v13, -v17, v17, s[4:5]
	v_cndmask_b32_e64 v12, -v16, v16, s[4:5]
	;; [unrolled: 1-line block ×4, first 2 shown]
	v_pk_add_f32 v[14:15], v[14:15], v[42:43]
	v_pk_add_f32 v[12:13], v[12:13], v[40:41]
	ds_bpermute_b32 v18, v22, v12
	ds_bpermute_b32 v19, v22, v13
	ds_bpermute_b32 v40, v22, v14
	ds_bpermute_b32 v41, v22, v15
	ds_bpermute_b32 v44, v23, v26
	ds_bpermute_b32 v45, v23, v27
	ds_bpermute_b32 v46, v23, v28
	ds_bpermute_b32 v47, v23, v29
	v_cndmask_b32_e64 v13, -v13, v13, s[8:9]
	v_cndmask_b32_e64 v12, -v12, v12, s[8:9]
	v_cndmask_b32_e64 v15, -v15, v15, s[8:9]
	v_cndmask_b32_e64 v14, -v14, v14, s[8:9]
	s_waitcnt lgkmcnt(4)
	v_pk_add_f32 v[14:15], v[14:15], v[40:41]
	v_pk_add_f32 v[12:13], v[12:13], v[18:19]
	ds_write_b128 v25, v[12:15] offset:4096
	v_cndmask_b32_e64 v13, -v27, v27, s[4:5]
	v_cndmask_b32_e64 v12, -v26, v26, s[4:5]
	v_cndmask_b32_e64 v15, -v29, v29, s[4:5]
	v_cndmask_b32_e64 v14, -v28, v28, s[4:5]
	s_waitcnt lgkmcnt(1)
	v_pk_add_f32 v[14:15], v[14:15], v[46:47]
	v_pk_add_f32 v[12:13], v[12:13], v[44:45]
	ds_bpermute_b32 v44, v22, v12
	ds_bpermute_b32 v45, v22, v13
	ds_bpermute_b32 v46, v22, v14
	ds_bpermute_b32 v47, v22, v15
	ds_bpermute_b32 v52, v23, v30
	ds_bpermute_b32 v53, v23, v31
	ds_bpermute_b32 v54, v23, v32
	ds_bpermute_b32 v55, v23, v33
	v_cndmask_b32_e64 v13, -v13, v13, s[8:9]
	v_cndmask_b32_e64 v12, -v12, v12, s[8:9]
	v_cndmask_b32_e64 v15, -v15, v15, s[8:9]
	v_cndmask_b32_e64 v14, -v14, v14, s[8:9]
	s_waitcnt lgkmcnt(4)
	v_pk_add_f32 v[14:15], v[14:15], v[46:47]
	v_pk_add_f32 v[12:13], v[12:13], v[44:45]
	ds_write_b128 v25, v[12:15] offset:8192
	v_cndmask_b32_e64 v13, -v31, v31, s[4:5]
	v_cndmask_b32_e64 v12, -v30, v30, s[4:5]
	v_cndmask_b32_e64 v15, -v33, v33, s[4:5]
	v_cndmask_b32_e64 v14, -v32, v32, s[4:5]
	s_waitcnt lgkmcnt(1)
	;; [unrolled: 23-line block ×3, first 2 shown]
	v_pk_add_f32 v[14:15], v[14:15], v[38:39]
	v_pk_add_f32 v[12:13], v[12:13], v[20:21]
	ds_bpermute_b32 v16, v23, v8
	ds_bpermute_b32 v17, v23, v9
	;; [unrolled: 1-line block ×8, first 2 shown]
	v_cndmask_b32_e64 v13, -v13, v13, s[8:9]
	v_cndmask_b32_e64 v12, -v12, v12, s[8:9]
	;; [unrolled: 1-line block ×8, first 2 shown]
	s_waitcnt lgkmcnt(0)
	v_pk_add_f32 v[14:15], v[14:15], v[30:31]
	v_pk_add_f32 v[12:13], v[12:13], v[20:21]
	;; [unrolled: 1-line block ×4, first 2 shown]
	ds_bpermute_b32 v18, v23, v4
	ds_bpermute_b32 v19, v23, v5
	ds_bpermute_b32 v40, v23, v6
	ds_bpermute_b32 v41, v23, v7
	ds_write_b128 v25, v[12:15] offset:16384
	ds_bpermute_b32 v12, v22, v8
	ds_bpermute_b32 v13, v22, v9
	;; [unrolled: 1-line block ×4, first 2 shown]
	v_cndmask_b32_e64 v9, -v9, v9, s[8:9]
	v_cndmask_b32_e64 v8, -v8, v8, s[8:9]
	;; [unrolled: 1-line block ×8, first 2 shown]
	s_waitcnt lgkmcnt(0)
	v_pk_add_f32 v[10:11], v[10:11], v[14:15]
	v_pk_add_f32 v[8:9], v[8:9], v[12:13]
	;; [unrolled: 1-line block ×4, first 2 shown]
	ds_bpermute_b32 v26, v23, v0
	ds_bpermute_b32 v27, v23, v1
	;; [unrolled: 1-line block ×4, first 2 shown]
	ds_write_b128 v25, v[8:11] offset:20480
	ds_bpermute_b32 v8, v22, v4
	ds_bpermute_b32 v9, v22, v5
	;; [unrolled: 1-line block ×4, first 2 shown]
	v_cndmask_b32_e64 v5, -v5, v5, s[8:9]
	v_cndmask_b32_e64 v4, -v4, v4, s[8:9]
	;; [unrolled: 1-line block ×8, first 2 shown]
	s_waitcnt lgkmcnt(0)
	v_pk_add_f32 v[6:7], v[6:7], v[10:11]
	v_pk_add_f32 v[4:5], v[4:5], v[8:9]
	;; [unrolled: 1-line block ×4, first 2 shown]
	ds_write_b128 v25, v[4:7] offset:24576
	ds_bpermute_b32 v4, v22, v0
	ds_bpermute_b32 v5, v22, v1
	;; [unrolled: 1-line block ×4, first 2 shown]
	v_cndmask_b32_e64 v1, -v1, v1, s[8:9]
	v_cndmask_b32_e64 v0, -v0, v0, s[8:9]
	;; [unrolled: 1-line block ×4, first 2 shown]
	s_waitcnt lgkmcnt(0)
	v_pk_add_f32 v[2:3], v[2:3], v[6:7]
	v_pk_add_f32 v[0:1], v[0:1], v[4:5]
	ds_write_b128 v25, v[0:3] offset:28672
	s_waitcnt lgkmcnt(0)
	s_barrier
	s_mul_i32 s4, s18, s7
	s_mul_hi_u32 s5, s18, s6
	ds_read_b128 v[0:3], v24 offset:8192
	ds_read_b128 v[4:7], v24 offset:24576
	ds_read_b128 v[8:11], v24
	ds_read_b128 v[12:15], v24 offset:4096
	ds_read_b128 v[16:19], v24 offset:12288
	;; [unrolled: 1-line block ×5, first 2 shown]
	s_add_i32 s4, s5, s4
	s_mul_i32 s5, s19, s6
	s_add_i32 s5, s4, s5
	s_mul_i32 s4, s18, s6
	s_lshl_b64 s[4:5], s[4:5], 1
	s_add_u32 s4, s22, s4
	s_addc_u32 s5, s23, s5
	s_mov_b32 s21, s20
	s_mov_b32 s6, s20
	;; [unrolled: 1-line block ×3, first 2 shown]
	s_waitcnt lgkmcnt(5)
	v_pk_add_f32 v[34:35], v[10:11], v[2:3]
	v_pk_add_f32 v[38:39], v[8:9], v[0:1]
	s_waitcnt lgkmcnt(2)
	v_pk_add_f32 v[42:43], v[30:31], v[6:7]
	v_pk_add_f32 v[46:47], v[28:29], v[4:5]
	;; [unrolled: 1-line block ×4, first 2 shown]
	s_waitcnt lgkmcnt(0)
	v_pk_add_f32 v[40:41], v[22:23], v[26:27]
	v_pk_add_f32 v[44:45], v[20:21], v[24:25]
	s_and_saveexec_b64 s[8:9], s[16:17]
	s_cbranch_execz .LBB23_10
; %bb.9:
	v_pk_add_f32 v[52:53], v[34:35], v[42:43]
	v_pk_mul_f32 v[52:53], s[6:7], v[52:53]
	v_pk_add_f32 v[54:55], v[38:39], v[46:47]
	v_cvt_f16_f32_e32 v58, v53
	v_cvt_f16_f32_e32 v59, v52
	v_pk_add_f32 v[52:53], v[32:33], v[40:41]
	v_pk_add_f32 v[56:57], v[36:37], v[44:45]
	v_pk_mul_f32 v[54:55], s[20:21], v[54:55]
	v_pk_mul_f32 v[52:53], s[6:7], v[52:53]
	;; [unrolled: 1-line block ×3, first 2 shown]
	v_cvt_f16_f32_e32 v60, v55
	v_cvt_f16_f32_e32 v53, v53
	;; [unrolled: 1-line block ×6, first 2 shown]
	v_pack_b32_f16 v55, v52, v53
	v_pack_b32_f16 v53, v59, v58
	;; [unrolled: 1-line block ×4, first 2 shown]
	global_store_dwordx4 v51, v[52:55], s[4:5]
.LBB23_10:
	s_or_b64 exec, exec, s[8:9]
	v_sub_f32_e32 v11, v11, v3
	v_sub_f32_e32 v10, v10, v2
	v_sub_f32_e32 v9, v9, v1
	v_sub_f32_e32 v8, v8, v0
	v_sub_f32_e32 v31, v31, v7
	v_sub_f32_e32 v30, v30, v6
	v_sub_f32_e32 v29, v29, v5
	v_sub_f32_e32 v28, v28, v4
	v_sub_f32_e32 v1, v15, v19
	v_sub_f32_e32 v0, v14, v18
	v_sub_f32_e32 v3, v13, v17
	v_sub_f32_e32 v2, v12, v16
	v_sub_f32_e32 v5, v23, v27
	v_sub_f32_e32 v4, v22, v26
	v_sub_f32_e32 v7, v21, v25
	v_sub_f32_e32 v6, v20, v24
	s_and_saveexec_b64 s[8:9], s[0:1]
	s_cbranch_execnz .LBB23_14
; %bb.11:
	s_or_b64 exec, exec, s[8:9]
	s_and_saveexec_b64 s[0:1], s[2:3]
	s_cbranch_execnz .LBB23_15
.LBB23_12:
	s_or_b64 exec, exec, s[0:1]
	s_and_saveexec_b64 s[0:1], vcc
	s_cbranch_execnz .LBB23_16
.LBB23_13:
	s_endpgm
.LBB23_14:
	v_pk_add_f32 v[12:13], v[10:11], v[30:31]
	v_pk_mul_f32 v[12:13], s[6:7], v[12:13]
	v_pk_add_f32 v[14:15], v[8:9], v[28:29]
	v_cvt_f16_f32_e32 v18, v13
	v_cvt_f16_f32_e32 v19, v12
	v_pk_add_f32 v[12:13], v[0:1], v[4:5]
	v_pk_add_f32 v[16:17], v[2:3], v[6:7]
	v_pk_mul_f32 v[14:15], s[20:21], v[14:15]
	v_pk_mul_f32 v[12:13], s[6:7], v[12:13]
	;; [unrolled: 1-line block ×3, first 2 shown]
	v_cvt_f16_f32_e32 v20, v15
	v_cvt_f16_f32_e32 v13, v13
	;; [unrolled: 1-line block ×6, first 2 shown]
	v_pack_b32_f16 v15, v12, v13
	v_pack_b32_f16 v13, v19, v18
	;; [unrolled: 1-line block ×4, first 2 shown]
	global_store_dwordx4 v50, v[12:15], s[4:5]
	s_or_b64 exec, exec, s[8:9]
	s_and_saveexec_b64 s[0:1], s[2:3]
	s_cbranch_execz .LBB23_12
.LBB23_15:
	v_sub_f32_e32 v13, v39, v47
	v_sub_f32_e32 v12, v38, v46
	;; [unrolled: 1-line block ×8, first 2 shown]
	v_pk_mul_f32 v[14:15], s[6:7], v[14:15]
	v_pk_mul_f32 v[12:13], s[20:21], v[12:13]
	;; [unrolled: 1-line block ×4, first 2 shown]
	v_cvt_f16_f32_e32 v20, v13
	v_cvt_f16_f32_e32 v13, v15
	;; [unrolled: 1-line block ×8, first 2 shown]
	v_pack_b32_f16 v15, v18, v15
	v_pack_b32_f16 v14, v16, v17
	;; [unrolled: 1-line block ×4, first 2 shown]
	global_store_dwordx4 v49, v[12:15], s[4:5]
	s_or_b64 exec, exec, s[0:1]
	s_and_saveexec_b64 s[0:1], vcc
	s_cbranch_execz .LBB23_13
.LBB23_16:
	v_sub_f32_e32 v9, v9, v29
	v_sub_f32_e32 v8, v8, v28
	;; [unrolled: 1-line block ×8, first 2 shown]
	v_pk_mul_f32 v[10:11], s[6:7], v[10:11]
	v_pk_mul_f32 v[8:9], s[20:21], v[8:9]
	;; [unrolled: 1-line block ×4, first 2 shown]
	v_cvt_f16_f32_e32 v9, v9
	v_cvt_f16_f32_e32 v11, v11
	;; [unrolled: 1-line block ×8, first 2 shown]
	v_pack_b32_f16 v3, v0, v1
	v_pack_b32_f16 v2, v2, v4
	;; [unrolled: 1-line block ×4, first 2 shown]
	global_store_dwordx4 v48, v[0:3], s[4:5]
	s_endpgm
	.section	.rodata,"a",@progbits
	.p2align	6, 0x0
	.amdhsa_kernel _Z30fast_hadamard_transform_kernelI37fast_hadamard_transform_kernel_traitsILi256ELi13E6__halfEEv18HadamardParamsBase
		.amdhsa_group_segment_fixed_size 0
		.amdhsa_private_segment_fixed_size 0
		.amdhsa_kernarg_size 312
		.amdhsa_user_sgpr_count 6
		.amdhsa_user_sgpr_private_segment_buffer 1
		.amdhsa_user_sgpr_dispatch_ptr 0
		.amdhsa_user_sgpr_queue_ptr 0
		.amdhsa_user_sgpr_kernarg_segment_ptr 1
		.amdhsa_user_sgpr_dispatch_id 0
		.amdhsa_user_sgpr_flat_scratch_init 0
		.amdhsa_user_sgpr_kernarg_preload_length 0
		.amdhsa_user_sgpr_kernarg_preload_offset 0
		.amdhsa_user_sgpr_private_segment_size 0
		.amdhsa_uses_dynamic_stack 0
		.amdhsa_system_sgpr_private_segment_wavefront_offset 0
		.amdhsa_system_sgpr_workgroup_id_x 1
		.amdhsa_system_sgpr_workgroup_id_y 0
		.amdhsa_system_sgpr_workgroup_id_z 0
		.amdhsa_system_sgpr_workgroup_info 0
		.amdhsa_system_vgpr_workitem_id 0
		.amdhsa_next_free_vgpr 72
		.amdhsa_next_free_sgpr 24
		.amdhsa_accum_offset 72
		.amdhsa_reserve_vcc 1
		.amdhsa_reserve_flat_scratch 0
		.amdhsa_float_round_mode_32 0
		.amdhsa_float_round_mode_16_64 0
		.amdhsa_float_denorm_mode_32 3
		.amdhsa_float_denorm_mode_16_64 3
		.amdhsa_dx10_clamp 1
		.amdhsa_ieee_mode 1
		.amdhsa_fp16_overflow 0
		.amdhsa_tg_split 0
		.amdhsa_exception_fp_ieee_invalid_op 0
		.amdhsa_exception_fp_denorm_src 0
		.amdhsa_exception_fp_ieee_div_zero 0
		.amdhsa_exception_fp_ieee_overflow 0
		.amdhsa_exception_fp_ieee_underflow 0
		.amdhsa_exception_fp_ieee_inexact 0
		.amdhsa_exception_int_div_zero 0
	.end_amdhsa_kernel
	.section	.text._Z30fast_hadamard_transform_kernelI37fast_hadamard_transform_kernel_traitsILi256ELi13E6__halfEEv18HadamardParamsBase,"axG",@progbits,_Z30fast_hadamard_transform_kernelI37fast_hadamard_transform_kernel_traitsILi256ELi13E6__halfEEv18HadamardParamsBase,comdat
.Lfunc_end23:
	.size	_Z30fast_hadamard_transform_kernelI37fast_hadamard_transform_kernel_traitsILi256ELi13E6__halfEEv18HadamardParamsBase, .Lfunc_end23-_Z30fast_hadamard_transform_kernelI37fast_hadamard_transform_kernel_traitsILi256ELi13E6__halfEEv18HadamardParamsBase
                                        ; -- End function
	.section	.AMDGPU.csdata,"",@progbits
; Kernel info:
; codeLenInByte = 8408
; NumSgprs: 28
; NumVgprs: 72
; NumAgprs: 0
; TotalNumVgprs: 72
; ScratchSize: 0
; MemoryBound: 0
; FloatMode: 240
; IeeeMode: 1
; LDSByteSize: 0 bytes/workgroup (compile time only)
; SGPRBlocks: 3
; VGPRBlocks: 8
; NumSGPRsForWavesPerEU: 28
; NumVGPRsForWavesPerEU: 72
; AccumOffset: 72
; Occupancy: 7
; WaveLimiterHint : 0
; COMPUTE_PGM_RSRC2:SCRATCH_EN: 0
; COMPUTE_PGM_RSRC2:USER_SGPR: 6
; COMPUTE_PGM_RSRC2:TRAP_HANDLER: 0
; COMPUTE_PGM_RSRC2:TGID_X_EN: 1
; COMPUTE_PGM_RSRC2:TGID_Y_EN: 0
; COMPUTE_PGM_RSRC2:TGID_Z_EN: 0
; COMPUTE_PGM_RSRC2:TIDIG_COMP_CNT: 0
; COMPUTE_PGM_RSRC3_GFX90A:ACCUM_OFFSET: 17
; COMPUTE_PGM_RSRC3_GFX90A:TG_SPLIT: 0
	.section	.text._Z30fast_hadamard_transform_kernelI37fast_hadamard_transform_kernel_traitsILi256ELi14E6__halfEEv18HadamardParamsBase,"axG",@progbits,_Z30fast_hadamard_transform_kernelI37fast_hadamard_transform_kernel_traitsILi256ELi14E6__halfEEv18HadamardParamsBase,comdat
	.protected	_Z30fast_hadamard_transform_kernelI37fast_hadamard_transform_kernel_traitsILi256ELi14E6__halfEEv18HadamardParamsBase ; -- Begin function _Z30fast_hadamard_transform_kernelI37fast_hadamard_transform_kernel_traitsILi256ELi14E6__halfEEv18HadamardParamsBase
	.globl	_Z30fast_hadamard_transform_kernelI37fast_hadamard_transform_kernel_traitsILi256ELi14E6__halfEEv18HadamardParamsBase
	.p2align	8
	.type	_Z30fast_hadamard_transform_kernelI37fast_hadamard_transform_kernel_traitsILi256ELi14E6__halfEEv18HadamardParamsBase,@function
_Z30fast_hadamard_transform_kernelI37fast_hadamard_transform_kernel_traitsILi256ELi14E6__halfEEv18HadamardParamsBase: ; @_Z30fast_hadamard_transform_kernelI37fast_hadamard_transform_kernel_traitsILi256ELi14E6__halfEEv18HadamardParamsBase
; %bb.0:
	s_load_dwordx8 s[36:43], s[4:5], 0x10
	s_load_dword s16, s[4:5], 0x4
	s_ashr_i32 s7, s6, 31
	s_load_dword s2, s[4:5], 0x44
	v_lshlrev_b32_e32 v1, 3, v0
	s_waitcnt lgkmcnt(0)
	s_mul_hi_u32 s0, s36, s6
	s_mul_i32 s1, s36, s7
	s_add_i32 s0, s0, s1
	s_mul_i32 s1, s37, s6
	s_add_i32 s1, s0, s1
	s_mul_i32 s0, s36, s6
	s_lshl_b64 s[0:1], s[0:1], 1
	s_add_u32 s14, s42, s0
	s_addc_u32 s15, s43, s1
	v_cmp_gt_u32_e64 s[12:13], s16, v1
	v_mov_b32_e32 v14, 0
	v_lshlrev_b32_e32 v112, 4, v0
	v_mov_b32_e32 v4, 0
	v_mov_b32_e32 v5, 0
	;; [unrolled: 1-line block ×8, first 2 shown]
	s_and_saveexec_b64 s[0:1], s[12:13]
	s_cbranch_execz .LBB24_2
; %bb.1:
	global_load_dwordx4 v[6:9], v112, s[14:15]
	s_waitcnt vmcnt(0)
	v_cvt_f32_f16_e32 v2, v6
	v_cvt_f32_f16_sdwa v6, v6 dst_sel:DWORD dst_unused:UNUSED_PAD src0_sel:WORD_1
	v_cvt_f32_f16_e32 v10, v7
	v_cvt_f32_f16_sdwa v12, v7 dst_sel:DWORD dst_unused:UNUSED_PAD src0_sel:WORD_1
	v_cvt_f32_f16_sdwa v4, v8 dst_sel:DWORD dst_unused:UNUSED_PAD src0_sel:WORD_1
	v_cvt_f32_f16_e32 v5, v9
	v_cvt_f32_f16_e32 v8, v8
	v_cvt_f32_f16_sdwa v9, v9 dst_sel:DWORD dst_unused:UNUSED_PAD src0_sel:WORD_1
.LBB24_2:
	s_or_b64 exec, exec, s[0:1]
	s_and_b32 s17, 0xffff, s2
	v_add_u32_e32 v1, s17, v0
	v_lshlrev_b32_e32 v3, 3, v1
	v_cmp_gt_u32_e64 s[10:11], s16, v3
	v_lshlrev_b32_e32 v130, 4, v1
	v_mov_b32_e32 v15, 0
	v_mov_b32_e32 v16, 0
	v_mov_b32_e32 v17, 0
	v_mov_b32_e32 v18, 0
	v_mov_b32_e32 v19, 0
	v_mov_b32_e32 v24, 0
	v_mov_b32_e32 v25, 0
	s_and_saveexec_b64 s[0:1], s[10:11]
	s_cbranch_execz .LBB24_4
; %bb.3:
	global_load_dwordx4 v[18:21], v130, s[14:15]
	s_waitcnt vmcnt(0)
	v_cvt_f32_f16_e32 v24, v18
	v_cvt_f32_f16_sdwa v25, v18 dst_sel:DWORD dst_unused:UNUSED_PAD src0_sel:WORD_1
	v_cvt_f32_f16_e32 v18, v19
	v_cvt_f32_f16_sdwa v19, v19 dst_sel:DWORD dst_unused:UNUSED_PAD src0_sel:WORD_1
	v_cvt_f32_f16_e32 v16, v20
	v_cvt_f32_f16_sdwa v17, v20 dst_sel:DWORD dst_unused:UNUSED_PAD src0_sel:WORD_1
	v_cvt_f32_f16_e32 v14, v21
	v_cvt_f32_f16_sdwa v15, v21 dst_sel:DWORD dst_unused:UNUSED_PAD src0_sel:WORD_1
.LBB24_4:
	s_or_b64 exec, exec, s[0:1]
	v_add_u32_e32 v1, s17, v1
	v_lshlrev_b32_e32 v3, 3, v1
	v_cmp_gt_u32_e64 s[8:9], s16, v3
	v_mov_b32_e32 v20, 0
	v_lshlrev_b32_e32 v129, 4, v1
	v_mov_b32_e32 v22, 0
	v_mov_b32_e32 v23, 0
	;; [unrolled: 1-line block ×8, first 2 shown]
	s_and_saveexec_b64 s[0:1], s[8:9]
	s_cbranch_execz .LBB24_6
; %bb.5:
	global_load_dwordx4 v[32:35], v129, s[14:15]
	s_waitcnt vmcnt(0)
	v_cvt_f32_f16_e32 v30, v32
	v_cvt_f32_f16_sdwa v31, v32 dst_sel:DWORD dst_unused:UNUSED_PAD src0_sel:WORD_1
	v_cvt_f32_f16_e32 v28, v33
	v_cvt_f32_f16_sdwa v29, v33 dst_sel:DWORD dst_unused:UNUSED_PAD src0_sel:WORD_1
	v_cvt_f32_f16_e32 v26, v34
	v_cvt_f32_f16_sdwa v27, v34 dst_sel:DWORD dst_unused:UNUSED_PAD src0_sel:WORD_1
	v_cvt_f32_f16_e32 v22, v35
	v_cvt_f32_f16_sdwa v23, v35 dst_sel:DWORD dst_unused:UNUSED_PAD src0_sel:WORD_1
.LBB24_6:
	s_or_b64 exec, exec, s[0:1]
	v_add_u32_e32 v1, s17, v1
	v_lshlrev_b32_e32 v3, 3, v1
	v_cmp_gt_u32_e64 s[26:27], s16, v3
	v_lshlrev_b32_e32 v128, 4, v1
	v_mov_b32_e32 v21, 0
	v_mov_b32_e32 v32, 0
	;; [unrolled: 1-line block ×7, first 2 shown]
	s_and_saveexec_b64 s[0:1], s[26:27]
	s_cbranch_execz .LBB24_8
; %bb.7:
	global_load_dwordx4 v[32:35], v128, s[14:15]
	s_waitcnt vmcnt(0)
	v_cvt_f32_f16_e32 v42, v32
	v_cvt_f32_f16_sdwa v43, v32 dst_sel:DWORD dst_unused:UNUSED_PAD src0_sel:WORD_1
	v_cvt_f32_f16_e32 v36, v33
	v_cvt_f32_f16_sdwa v37, v33 dst_sel:DWORD dst_unused:UNUSED_PAD src0_sel:WORD_1
	;; [unrolled: 2-line block ×4, first 2 shown]
.LBB24_8:
	s_or_b64 exec, exec, s[0:1]
	v_add_u32_e32 v1, s17, v1
	v_lshlrev_b32_e32 v3, 3, v1
	v_cmp_gt_u32_e64 s[24:25], s16, v3
	v_mov_b32_e32 v38, 0
	v_lshlrev_b32_e32 v127, 4, v1
	v_mov_b32_e32 v40, 0
	v_mov_b32_e32 v41, 0
	;; [unrolled: 1-line block ×8, first 2 shown]
	s_and_saveexec_b64 s[0:1], s[24:25]
	s_cbranch_execz .LBB24_10
; %bb.9:
	global_load_dwordx4 v[44:47], v127, s[14:15]
	s_waitcnt vmcnt(0)
	v_cvt_f32_f16_e32 v54, v44
	v_cvt_f32_f16_sdwa v55, v44 dst_sel:DWORD dst_unused:UNUSED_PAD src0_sel:WORD_1
	v_cvt_f32_f16_e32 v50, v45
	v_cvt_f32_f16_sdwa v51, v45 dst_sel:DWORD dst_unused:UNUSED_PAD src0_sel:WORD_1
	;; [unrolled: 2-line block ×4, first 2 shown]
.LBB24_10:
	s_or_b64 exec, exec, s[0:1]
	v_add_u32_e32 v1, s17, v1
	v_lshlrev_b32_e32 v3, 3, v1
	v_cmp_gt_u32_e64 s[2:3], s16, v3
	v_lshlrev_b32_e32 v126, 4, v1
	v_mov_b32_e32 v39, 0
	v_mov_b32_e32 v56, 0
	;; [unrolled: 1-line block ×7, first 2 shown]
	s_and_saveexec_b64 s[0:1], s[2:3]
	s_cbranch_execz .LBB24_12
; %bb.11:
	global_load_dwordx4 v[46:49], v126, s[14:15]
	s_waitcnt vmcnt(0)
	v_cvt_f32_f16_e32 v62, v46
	v_cvt_f32_f16_sdwa v63, v46 dst_sel:DWORD dst_unused:UNUSED_PAD src0_sel:WORD_1
	v_cvt_f32_f16_e32 v58, v47
	v_cvt_f32_f16_sdwa v59, v47 dst_sel:DWORD dst_unused:UNUSED_PAD src0_sel:WORD_1
	;; [unrolled: 2-line block ×4, first 2 shown]
.LBB24_12:
	s_or_b64 exec, exec, s[0:1]
	s_load_dwordx2 s[28:29], s[4:5], 0x30
	v_add_u32_e32 v1, s17, v1
	v_lshlrev_b32_e32 v3, 3, v1
	v_cmp_gt_u32_e64 s[0:1], s16, v3
	v_mov_b32_e32 v34, 0
	v_lshlrev_b32_e32 v125, 4, v1
	v_mov_b32_e32 v60, 0
	v_mov_b32_e32 v61, 0
	v_mov_b32_e32 v64, 0
	v_mov_b32_e32 v65, 0
	v_mov_b32_e32 v66, 0
	v_mov_b32_e32 v67, 0
	v_mov_b32_e32 v68, 0
	v_mov_b32_e32 v69, 0
	s_and_saveexec_b64 s[4:5], s[0:1]
	s_cbranch_execz .LBB24_14
; %bb.13:
	global_load_dwordx4 v[46:49], v125, s[14:15]
	s_waitcnt vmcnt(0)
	v_cvt_f32_f16_e32 v68, v46
	v_cvt_f32_f16_sdwa v69, v46 dst_sel:DWORD dst_unused:UNUSED_PAD src0_sel:WORD_1
	v_cvt_f32_f16_e32 v66, v47
	v_cvt_f32_f16_sdwa v67, v47 dst_sel:DWORD dst_unused:UNUSED_PAD src0_sel:WORD_1
	;; [unrolled: 2-line block ×4, first 2 shown]
.LBB24_14:
	s_or_b64 exec, exec, s[4:5]
	v_add_u32_e32 v1, s17, v1
	v_lshlrev_b32_e32 v3, 3, v1
	v_cmp_gt_u32_e32 vcc, s16, v3
	v_lshlrev_b32_e32 v124, 4, v1
	v_mov_b32_e32 v48, 0
	v_mov_b32_e32 v46, 0
	;; [unrolled: 1-line block ×7, first 2 shown]
	s_and_saveexec_b64 s[4:5], vcc
	s_cbranch_execz .LBB24_16
; %bb.15:
	global_load_dwordx4 v[70:73], v124, s[14:15]
	s_waitcnt vmcnt(0)
	v_cvt_f32_f16_e32 v47, v70
	v_cvt_f32_f16_sdwa v53, v70 dst_sel:DWORD dst_unused:UNUSED_PAD src0_sel:WORD_1
	v_cvt_f32_f16_e32 v35, v71
	v_cvt_f32_f16_sdwa v49, v71 dst_sel:DWORD dst_unused:UNUSED_PAD src0_sel:WORD_1
	;; [unrolled: 2-line block ×4, first 2 shown]
.LBB24_16:
	s_or_b64 exec, exec, s[4:5]
	v_mov_b32_e32 v70, v25
	v_pk_add_f32 v[72:73], v[70:71], v[24:25] op_sel_hi:[0,1]
	v_pk_add_f32 v[24:25], v[24:25], v[70:71] op_sel_hi:[1,0] neg_lo:[0,1] neg_hi:[0,1]
	v_mov_b32_e32 v70, v31
	v_pk_add_f32 v[74:75], v[70:71], v[30:31] op_sel_hi:[0,1]
	v_pk_add_f32 v[30:31], v[30:31], v[70:71] op_sel_hi:[1,0] neg_lo:[0,1] neg_hi:[0,1]
	;; [unrolled: 3-line block ×24, first 2 shown]
	v_pk_add_f32 v[70:71], v[84:85], v[72:73]
	v_pk_add_f32 v[72:73], v[72:73], v[84:85] neg_lo:[0,1] neg_hi:[0,1]
	v_pk_add_f32 v[84:85], v[86:87], v[74:75]
	v_pk_add_f32 v[74:75], v[74:75], v[86:87] neg_lo:[0,1] neg_hi:[0,1]
	;; [unrolled: 2-line block ×12, first 2 shown]
	v_pk_add_f32 v[28:29], v[12:13], v[10:11] op_sel_hi:[0,1]
	v_pk_add_f32 v[36:37], v[4:5], v[8:9]
	v_pk_add_f32 v[68:69], v[6:7], v[2:3] op_sel_hi:[0,1]
	v_mov_b32_e32 v29, v36
	v_mov_b32_e32 v69, v37
	;; [unrolled: 1-line block ×6, first 2 shown]
	v_pk_add_f32 v[134:135], v[28:29], v[68:69]
	v_mov_b32_e32 v69, v36
	v_mov_b32_e32 v29, v37
	v_pk_add_f32 v[10:11], v[10:11], v[12:13] neg_lo:[0,1] neg_hi:[0,1]
	v_pk_add_f32 v[2:3], v[2:3], v[6:7] neg_lo:[0,1] neg_hi:[0,1]
	;; [unrolled: 1-line block ×3, first 2 shown]
	v_pk_add_f32 v[28:29], v[108:109], v[96:97]
	v_pk_add_f32 v[96:97], v[96:97], v[108:109] neg_lo:[0,1] neg_hi:[0,1]
	v_pk_add_f32 v[36:37], v[110:111], v[98:99]
	v_pk_add_f32 v[98:99], v[98:99], v[110:111] neg_lo:[0,1] neg_hi:[0,1]
	;; [unrolled: 2-line block ×6, first 2 shown]
	v_pk_add_f32 v[118:119], v[52:53], v[46:47]
	v_pk_add_f32 v[120:121], v[48:49], v[34:35]
	v_mov_b32_e32 v4, v2
	v_mov_b32_e32 v5, v11
	v_pk_add_f32 v[8:9], v[10:11], v[2:3]
	v_mov_b32_e32 v11, v3
	v_pk_add_f32 v[2:3], v[46:47], v[52:53] neg_lo:[0,1] neg_hi:[0,1]
	v_pk_add_f32 v[6:7], v[34:35], v[48:49] neg_lo:[0,1] neg_hi:[0,1]
	v_pk_add_f32 v[136:137], v[120:121], v[118:119]
	v_pk_add_f32 v[46:47], v[6:7], v[2:3]
	v_pk_add_f32 v[48:49], v[2:3], v[6:7] neg_lo:[0,1] neg_hi:[0,1]
	v_mov_b32_e32 v2, v135
	v_pk_add_f32 v[118:119], v[118:119], v[120:121] neg_lo:[0,1] neg_hi:[0,1]
	v_pk_add_f32 v[120:121], v[4:5], v[10:11] neg_lo:[0,1] neg_hi:[0,1]
	v_pk_add_f32 v[4:5], v[14:15], v[16:17]
	v_pk_add_f32 v[14:15], v[16:17], v[14:15] neg_lo:[0,1] neg_hi:[0,1]
	v_pk_add_f32 v[10:11], v[22:23], v[26:27]
	;; [unrolled: 2-line block ×7, first 2 shown]
	v_pk_add_f32 v[60:61], v[134:135], v[2:3] neg_lo:[0,1] neg_hi:[0,1]
	v_mov_b32_e32 v2, v137
	v_mbcnt_lo_u32_b32 v1, -1, 0
	v_pk_add_f32 v[20:21], v[116:117], v[92:93]
	v_pk_add_f32 v[12:13], v[92:93], v[116:117] neg_lo:[0,1] neg_hi:[0,1]
	v_pk_add_f32 v[6:7], v[136:137], v[2:3]
	v_pk_add_f32 v[2:3], v[2:3], v[136:137] neg_lo:[0,1] neg_hi:[0,1]
	;; [unrolled: 2-line block ×3, first 2 shown]
	v_mov_b32_e32 v4, v47
	v_mbcnt_hi_u32_b32 v1, -1, v1
	v_pk_add_f32 v[64:65], v[28:29], v[70:71]
	v_pk_add_f32 v[134:135], v[70:71], v[28:29] neg_lo:[0,1] neg_hi:[0,1]
	v_pk_add_f32 v[142:143], v[36:37], v[84:85]
	v_pk_add_f32 v[84:85], v[84:85], v[36:37] neg_lo:[0,1] neg_hi:[0,1]
	;; [unrolled: 2-line block ×7, first 2 shown]
	v_and_b32_e32 v3, 64, v1
	v_add_u32_e32 v3, 64, v3
	v_xor_b32_e32 v5, 1, v1
	v_cmp_lt_i32_e64 s[4:5], v5, v3
	v_cndmask_b32_e64 v5, v1, v5, s[4:5]
	v_lshlrev_b32_e32 v70, 2, v5
	ds_bpermute_b32 v5, v70, v52
	v_mov_b32_e32 v34, v9
	v_and_b32_e32 v7, 1, v0
	v_pk_add_f32 v[88:89], v[8:9], v[34:35]
	v_pk_add_f32 v[90:91], v[8:9], v[34:35] neg_lo:[0,1] neg_hi:[0,1]
	v_mov_b32_e32 v8, v69
	v_cmp_eq_u32_e64 s[14:15], 0, v7
	v_pk_add_f32 v[146:147], v[26:27], v[42:43]
	v_pk_add_f32 v[148:149], v[42:43], v[26:27] neg_lo:[0,1] neg_hi:[0,1]
	v_pk_add_f32 v[42:43], v[32:33], v[54:55]
	v_pk_add_f32 v[34:35], v[54:55], v[32:33] neg_lo:[0,1] neg_hi:[0,1]
	v_pk_add_f32 v[54:55], v[68:69], v[8:9]
	v_cndmask_b32_e64 v7, -v52, v52, s[14:15]
	s_waitcnt lgkmcnt(0)
	v_add_f32_e32 v5, v7, v5
	ds_bpermute_b32 v7, v70, v54
	v_pk_add_f32 v[26:27], v[40:41], v[62:63]
	v_pk_add_f32 v[18:19], v[62:63], v[40:41] neg_lo:[0,1] neg_hi:[0,1]
	v_pk_add_f32 v[62:63], v[68:69], v[8:9] neg_lo:[0,1] neg_hi:[0,1]
	v_mov_b32_e32 v8, v119
	v_cndmask_b32_e64 v13, -v54, v54, s[14:15]
	v_pk_add_f32 v[116:117], v[16:17], v[24:25]
	v_pk_add_f32 v[136:137], v[24:25], v[16:17] neg_lo:[0,1] neg_hi:[0,1]
	v_pk_add_f32 v[16:17], v[118:119], v[8:9]
	v_pk_add_f32 v[8:9], v[8:9], v[118:119] neg_lo:[0,1] neg_hi:[0,1]
	s_waitcnt lgkmcnt(0)
	v_add_f32_e32 v7, v13, v7
	ds_bpermute_b32 v13, v70, v60
	ds_bpermute_b32 v9, v70, v88
	v_mov_b32_e32 v46, v121
	v_cndmask_b32_e64 v17, -v60, v60, s[14:15]
	v_pk_add_f32 v[68:69], v[96:97], v[72:73]
	v_pk_add_f32 v[72:73], v[72:73], v[96:97] neg_lo:[0,1] neg_hi:[0,1]
	v_pk_add_f32 v[96:97], v[98:99], v[74:75]
	v_pk_add_f32 v[74:75], v[74:75], v[98:99] neg_lo:[0,1] neg_hi:[0,1]
	;; [unrolled: 2-line block ×5, first 2 shown]
	v_pk_add_f32 v[80:81], v[120:121], v[46:47]
	v_cndmask_b32_e64 v11, -v88, v88, s[14:15]
	s_waitcnt lgkmcnt(1)
	v_add_f32_e32 v13, v17, v13
	ds_bpermute_b32 v17, v70, v62
	s_waitcnt lgkmcnt(1)
	v_add_f32_e32 v9, v11, v9
	ds_bpermute_b32 v11, v70, v80
	v_pk_add_f32 v[32:33], v[106:107], v[82:83]
	v_pk_add_f32 v[24:25], v[82:83], v[106:107] neg_lo:[0,1] neg_hi:[0,1]
	v_pk_add_f32 v[104:105], v[14:15], v[122:123]
	v_pk_add_f32 v[106:107], v[122:123], v[14:15] neg_lo:[0,1] neg_hi:[0,1]
	v_mov_b32_e32 v14, v49
	v_pk_add_f32 v[82:83], v[120:121], v[46:47] neg_lo:[0,1] neg_hi:[0,1]
	v_pk_add_f32 v[118:119], v[22:23], v[30:31]
	v_pk_add_f32 v[120:121], v[30:31], v[22:23] neg_lo:[0,1] neg_hi:[0,1]
	v_pk_add_f32 v[22:23], v[48:49], v[14:15]
	v_pk_add_f32 v[14:15], v[14:15], v[48:49] neg_lo:[0,1] neg_hi:[0,1]
	v_cndmask_b32_e64 v21, -v62, v62, s[14:15]
	v_cndmask_b32_e64 v15, -v80, v80, s[14:15]
	s_waitcnt lgkmcnt(1)
	v_add_f32_e32 v17, v21, v17
	ds_bpermute_b32 v21, v70, v64
	s_waitcnt lgkmcnt(1)
	v_add_f32_e32 v11, v15, v11
	ds_bpermute_b32 v15, v70, v90
	v_cndmask_b32_e64 v25, -v64, v64, s[14:15]
	v_cndmask_b32_e64 v19, -v90, v90, s[14:15]
	s_waitcnt lgkmcnt(1)
	v_add_f32_e32 v21, v25, v21
	ds_bpermute_b32 v25, v70, v68
	s_waitcnt lgkmcnt(1)
	v_add_f32_e32 v15, v19, v15
	ds_bpermute_b32 v19, v70, v82
	;; [unrolled: 8-line block ×4, first 2 shown]
	v_pk_add_f32 v[30:31], v[66:67], v[56:57] neg_lo:[0,1] neg_hi:[0,1]
	v_cndmask_b32_e64 v37, -v72, v72, s[14:15]
	v_cndmask_b32_e64 v31, -v104, v104, s[14:15]
	s_waitcnt lgkmcnt(1)
	v_add_f32_e32 v33, v37, v33
	ds_bpermute_b32 v37, v70, v142
	s_waitcnt lgkmcnt(1)
	v_add_f32_e32 v27, v31, v27
	ds_bpermute_b32 v31, v70, v94
	v_cndmask_b32_e64 v41, -v142, v142, s[14:15]
	v_cndmask_b32_e64 v35, -v94, v94, s[14:15]
	s_waitcnt lgkmcnt(1)
	v_add_f32_e32 v37, v41, v37
	ds_bpermute_b32 v41, v70, v96
	s_waitcnt lgkmcnt(1)
	v_add_f32_e32 v31, v35, v31
	ds_bpermute_b32 v35, v70, v106
	v_pk_add_f32 v[122:123], v[138:139], v[132:133]
	v_pk_add_f32 v[132:133], v[132:133], v[138:139] neg_lo:[0,1] neg_hi:[0,1]
	v_pk_add_f32 v[138:139], v[140:141], v[50:51]
	v_pk_add_f32 v[50:51], v[50:51], v[140:141] neg_lo:[0,1] neg_hi:[0,1]
	;; [unrolled: 2-line block ×3, first 2 shown]
	v_pk_add_f32 v[38:39], v[56:57], v[66:67]
	v_cndmask_b32_e64 v45, -v96, v96, s[14:15]
	v_cndmask_b32_e64 v39, -v106, v106, s[14:15]
	s_waitcnt lgkmcnt(1)
	v_add_f32_e32 v41, v45, v41
	ds_bpermute_b32 v45, v70, v84
	s_waitcnt lgkmcnt(1)
	v_add_f32_e32 v35, v39, v35
	ds_bpermute_b32 v39, v70, v110
	v_cndmask_b32_e64 v48, -v84, v84, s[14:15]
	v_cndmask_b32_e64 v43, -v110, v110, s[14:15]
	s_waitcnt lgkmcnt(1)
	v_add_f32_e32 v45, v48, v45
	ds_bpermute_b32 v48, v70, v74
	s_waitcnt lgkmcnt(1)
	v_add_f32_e32 v39, v43, v39
	ds_bpermute_b32 v43, v70, v118
	v_cndmask_b32_e64 v51, -v74, v74, s[14:15]
	v_cndmask_b32_e64 v47, -v118, v118, s[14:15]
	s_waitcnt lgkmcnt(1)
	v_add_f32_e32 v48, v51, v48
	ds_bpermute_b32 v51, v70, v144
	s_waitcnt lgkmcnt(1)
	v_add_f32_e32 v43, v47, v43
	ds_bpermute_b32 v47, v70, v114
	v_cndmask_b32_e64 v53, -v144, v144, s[14:15]
	v_cndmask_b32_e64 v49, -v114, v114, s[14:15]
	s_waitcnt lgkmcnt(1)
	v_add_f32_e32 v51, v53, v51
	ds_bpermute_b32 v53, v70, v98
	s_waitcnt lgkmcnt(1)
	v_add_f32_e32 v47, v49, v47
	ds_bpermute_b32 v49, v70, v120
	v_cndmask_b32_e64 v55, -v98, v98, s[14:15]
	v_cndmask_b32_e64 v52, -v120, v120, s[14:15]
	s_waitcnt lgkmcnt(1)
	v_add_f32_e32 v53, v55, v53
	ds_bpermute_b32 v55, v70, v86
	s_waitcnt lgkmcnt(1)
	v_add_f32_e32 v49, v52, v49
	ds_bpermute_b32 v52, v70, v116
	v_cndmask_b32_e64 v57, -v86, v86, s[14:15]
	v_cndmask_b32_e64 v54, -v116, v116, s[14:15]
	s_waitcnt lgkmcnt(1)
	v_add_f32_e32 v55, v57, v55
	ds_bpermute_b32 v57, v70, v76
	s_waitcnt lgkmcnt(1)
	v_add_f32_e32 v52, v54, v52
	ds_bpermute_b32 v54, v70, v122
	v_cndmask_b32_e64 v59, -v76, v76, s[14:15]
	v_cndmask_b32_e64 v56, -v122, v122, s[14:15]
	s_waitcnt lgkmcnt(1)
	v_add_f32_e32 v57, v59, v57
	ds_bpermute_b32 v59, v70, v108
	s_waitcnt lgkmcnt(1)
	v_add_f32_e32 v54, v56, v54
	ds_bpermute_b32 v56, v70, v136
	v_cndmask_b32_e64 v61, -v108, v108, s[14:15]
	v_cndmask_b32_e64 v58, -v136, v136, s[14:15]
	s_waitcnt lgkmcnt(1)
	v_add_f32_e32 v59, v61, v59
	ds_bpermute_b32 v61, v70, v100
	s_waitcnt lgkmcnt(1)
	v_add_f32_e32 v56, v58, v56
	ds_bpermute_b32 v58, v70, v132
	v_cndmask_b32_e64 v63, -v100, v100, s[14:15]
	v_cndmask_b32_e64 v60, -v132, v132, s[14:15]
	s_waitcnt lgkmcnt(1)
	v_add_f32_e32 v61, v63, v61
	ds_bpermute_b32 v63, v70, v44
	s_waitcnt lgkmcnt(1)
	v_add_f32_e32 v58, v60, v58
	ds_bpermute_b32 v60, v70, v146
	v_cndmask_b32_e64 v44, -v44, v44, s[14:15]
	v_cndmask_b32_e64 v62, -v146, v146, s[14:15]
	s_waitcnt lgkmcnt(1)
	v_add_f32_e32 v44, v44, v63
	ds_bpermute_b32 v63, v70, v78
	s_waitcnt lgkmcnt(1)
	v_add_f32_e32 v60, v62, v60
	ds_bpermute_b32 v62, v70, v138
	v_cndmask_b32_e64 v66, -v78, v78, s[14:15]
	v_cndmask_b32_e64 v64, -v138, v138, s[14:15]
	s_waitcnt lgkmcnt(1)
	v_add_f32_e32 v63, v66, v63
	ds_bpermute_b32 v66, v70, v36
	s_waitcnt lgkmcnt(1)
	v_add_f32_e32 v62, v64, v62
	ds_bpermute_b32 v64, v70, v148
	v_cndmask_b32_e64 v36, -v36, v36, s[14:15]
	v_cndmask_b32_e64 v65, -v148, v148, s[14:15]
	s_waitcnt lgkmcnt(1)
	v_add_f32_e32 v36, v36, v66
	ds_bpermute_b32 v66, v70, v102
	s_waitcnt lgkmcnt(1)
	v_add_f32_e32 v64, v65, v64
	ds_bpermute_b32 v65, v70, v50
	v_cndmask_b32_e64 v67, -v102, v102, s[14:15]
	v_cndmask_b32_e64 v50, -v50, v50, s[14:15]
	s_waitcnt lgkmcnt(1)
	v_add_f32_e32 v66, v67, v66
	ds_bpermute_b32 v67, v70, v28
	s_waitcnt lgkmcnt(1)
	v_add_f32_e32 v50, v50, v65
	ds_bpermute_b32 v65, v70, v42
	v_cndmask_b32_e64 v28, -v28, v28, s[14:15]
	v_cndmask_b32_e64 v42, -v42, v42, s[14:15]
	s_waitcnt lgkmcnt(1)
	v_add_f32_e32 v28, v28, v67
	ds_bpermute_b32 v67, v70, v40
	s_waitcnt lgkmcnt(1)
	v_add_f32_e32 v42, v42, v65
	ds_bpermute_b32 v65, v70, v140
	v_cndmask_b32_e64 v40, -v40, v40, s[14:15]
	v_cndmask_b32_e64 v68, -v140, v140, s[14:15]
	s_waitcnt lgkmcnt(1)
	v_add_f32_e32 v40, v40, v67
	ds_bpermute_b32 v67, v70, v20
	s_waitcnt lgkmcnt(1)
	v_add_f32_e32 v65, v68, v65
	ds_bpermute_b32 v68, v70, v34
	v_cndmask_b32_e64 v20, -v20, v20, s[14:15]
	v_cndmask_b32_e64 v34, -v34, v34, s[14:15]
	s_waitcnt lgkmcnt(1)
	v_add_f32_e32 v20, v20, v67
	ds_bpermute_b32 v67, v70, v32
	s_waitcnt lgkmcnt(1)
	v_add_f32_e32 v34, v34, v68
	ds_bpermute_b32 v68, v70, v46
	v_cndmask_b32_e64 v32, -v32, v32, s[14:15]
	v_cndmask_b32_e64 v46, -v46, v46, s[14:15]
	s_waitcnt lgkmcnt(1)
	v_add_f32_e32 v32, v32, v67
	ds_bpermute_b32 v67, v70, v12
	s_waitcnt lgkmcnt(1)
	v_add_f32_e32 v46, v46, v68
	ds_bpermute_b32 v68, v70, v26
	v_cndmask_b32_e64 v12, -v12, v12, s[14:15]
	v_cndmask_b32_e64 v26, -v26, v26, s[14:15]
	s_waitcnt lgkmcnt(1)
	v_add_f32_e32 v12, v12, v67
	ds_bpermute_b32 v67, v70, v24
	s_waitcnt lgkmcnt(1)
	v_add_f32_e32 v26, v26, v68
	ds_bpermute_b32 v68, v70, v38
	v_cndmask_b32_e64 v24, -v24, v24, s[14:15]
	v_cndmask_b32_e64 v38, -v38, v38, s[14:15]
	s_waitcnt lgkmcnt(1)
	v_add_f32_e32 v24, v24, v67
	ds_bpermute_b32 v67, v70, v6
	s_waitcnt lgkmcnt(1)
	v_add_f32_e32 v38, v38, v68
	ds_bpermute_b32 v68, v70, v18
	v_cndmask_b32_e64 v6, -v6, v6, s[14:15]
	v_cndmask_b32_e64 v18, -v18, v18, s[14:15]
	s_waitcnt lgkmcnt(1)
	v_add_f32_e32 v6, v6, v67
	ds_bpermute_b32 v67, v70, v16
	s_waitcnt lgkmcnt(1)
	v_add_f32_e32 v18, v18, v68
	ds_bpermute_b32 v68, v70, v30
	v_cndmask_b32_e64 v16, -v16, v16, s[14:15]
	v_cndmask_b32_e64 v30, -v30, v30, s[14:15]
	s_waitcnt lgkmcnt(1)
	v_add_f32_e32 v16, v16, v67
	ds_bpermute_b32 v67, v70, v2
	s_waitcnt lgkmcnt(1)
	v_add_f32_e32 v30, v30, v68
	ds_bpermute_b32 v68, v70, v10
	v_cndmask_b32_e64 v2, -v2, v2, s[14:15]
	v_cndmask_b32_e64 v10, -v10, v10, s[14:15]
	s_waitcnt lgkmcnt(1)
	v_add_f32_e32 v2, v2, v67
	ds_bpermute_b32 v67, v70, v8
	s_waitcnt lgkmcnt(1)
	v_add_f32_e32 v10, v10, v68
	ds_bpermute_b32 v68, v70, v22
	v_cndmask_b32_e64 v8, -v8, v8, s[14:15]
	v_cndmask_b32_e64 v22, -v22, v22, s[14:15]
	s_waitcnt lgkmcnt(1)
	v_add_f32_e32 v8, v8, v67
	v_xor_b32_e32 v67, 2, v1
	s_waitcnt lgkmcnt(0)
	v_add_f32_e32 v22, v22, v68
	ds_bpermute_b32 v68, v70, v4
	v_cmp_lt_i32_e64 s[4:5], v67, v3
	v_cndmask_b32_e64 v67, v1, v67, s[4:5]
	v_lshlrev_b32_e32 v71, 2, v67
	ds_bpermute_b32 v67, v71, v5
	v_cndmask_b32_e64 v4, -v4, v4, s[14:15]
	s_waitcnt lgkmcnt(1)
	v_add_f32_e32 v4, v4, v68
	v_and_b32_e32 v68, 2, v0
	v_cmp_eq_u32_e64 s[16:17], 0, v68
	v_cndmask_b32_e64 v5, -v5, v5, s[16:17]
	s_waitcnt lgkmcnt(0)
	v_add_f32_e32 v5, v5, v67
	ds_bpermute_b32 v67, v71, v7
	ds_bpermute_b32 v68, v71, v11
	v_cndmask_b32_e64 v7, -v7, v7, s[16:17]
	v_cndmask_b32_e64 v11, -v11, v11, s[16:17]
	ds_bpermute_b32 v69, v70, v14
	s_waitcnt lgkmcnt(2)
	v_add_f32_e32 v7, v7, v67
	ds_bpermute_b32 v67, v71, v13
	s_waitcnt lgkmcnt(2)
	v_add_f32_e32 v11, v11, v68
	ds_bpermute_b32 v68, v71, v15
	v_cndmask_b32_e64 v13, -v13, v13, s[16:17]
	v_cndmask_b32_e64 v15, -v15, v15, s[16:17]
	s_waitcnt lgkmcnt(1)
	v_add_f32_e32 v13, v13, v67
	ds_bpermute_b32 v67, v71, v17
	s_waitcnt lgkmcnt(1)
	v_add_f32_e32 v15, v15, v68
	ds_bpermute_b32 v68, v71, v19
	v_cndmask_b32_e64 v17, -v17, v17, s[16:17]
	v_cndmask_b32_e64 v19, -v19, v19, s[16:17]
	;; [unrolled: 8-line block ×6, first 2 shown]
	s_waitcnt lgkmcnt(1)
	v_add_f32_e32 v67, v33, v67
	ds_bpermute_b32 v33, v71, v37
	v_cndmask_b32_e64 v14, -v14, v14, s[14:15]
	s_waitcnt lgkmcnt(1)
	v_add_f32_e32 v68, v35, v68
	ds_bpermute_b32 v35, v71, v39
	v_cndmask_b32_e64 v37, -v37, v37, s[16:17]
	v_add_f32_e32 v14, v14, v69
	ds_bpermute_b32 v69, v71, v9
	s_waitcnt lgkmcnt(2)
	v_add_f32_e32 v37, v37, v33
	ds_bpermute_b32 v33, v71, v41
	v_cndmask_b32_e64 v39, -v39, v39, s[16:17]
	v_cndmask_b32_e64 v9, -v9, v9, s[16:17]
	s_waitcnt lgkmcnt(2)
	v_add_f32_e32 v39, v39, v35
	ds_bpermute_b32 v35, v71, v43
	v_cndmask_b32_e64 v41, -v41, v41, s[16:17]
	s_waitcnt lgkmcnt(2)
	v_add_f32_e32 v9, v9, v69
	s_waitcnt lgkmcnt(1)
	v_add_f32_e32 v69, v41, v33
	ds_bpermute_b32 v33, v71, v45
	v_cndmask_b32_e64 v41, -v43, v43, s[16:17]
	s_waitcnt lgkmcnt(1)
	v_add_f32_e32 v43, v41, v35
	ds_bpermute_b32 v35, v71, v47
	v_cndmask_b32_e64 v41, -v45, v45, s[16:17]
	;; [unrolled: 4-line block ×41, first 2 shown]
	s_waitcnt lgkmcnt(1)
	v_add_f32_e32 v86, v12, v10
	v_cndmask_b32_e64 v2, -v2, v2, s[16:17]
	ds_bpermute_b32 v10, v71, v4
	s_waitcnt lgkmcnt(1)
	v_add_f32_e32 v87, v2, v6
	ds_bpermute_b32 v2, v71, v8
	ds_bpermute_b32 v6, v71, v14
	v_cndmask_b32_e64 v4, -v4, v4, s[16:17]
	s_waitcnt lgkmcnt(2)
	v_add_f32_e32 v88, v4, v10
	v_cndmask_b32_e64 v4, -v8, v8, s[16:17]
	s_waitcnt lgkmcnt(1)
	v_add_f32_e32 v89, v4, v2
	;; [unrolled: 3-line block ×3, first 2 shown]
	v_xor_b32_e32 v2, 4, v1
	v_cmp_lt_i32_e64 s[4:5], v2, v3
	v_cndmask_b32_e64 v2, v1, v2, s[4:5]
	v_lshlrev_b32_e32 v91, 2, v2
	ds_bpermute_b32 v2, v91, v5
	ds_bpermute_b32 v6, v91, v9
	v_and_b32_e32 v4, 4, v0
	v_cmp_eq_u32_e64 s[18:19], 0, v4
	v_cndmask_b32_e64 v4, -v5, v5, s[18:19]
	s_waitcnt lgkmcnt(1)
	v_add_f32_e32 v92, v4, v2
	ds_bpermute_b32 v2, v91, v7
	v_cndmask_b32_e64 v4, -v9, v9, s[18:19]
	s_waitcnt lgkmcnt(1)
	v_add_f32_e32 v93, v4, v6
	ds_bpermute_b32 v4, v91, v11
	;; [unrolled: 4-line block ×26, first 2 shown]
	ds_bpermute_b32 v6, v91, v55
	ds_bpermute_b32 v7, v91, v56
	v_cndmask_b32_e64 v5, -v53, v53, s[18:19]
	s_waitcnt lgkmcnt(3)
	v_add_f32_e32 v2, v5, v2
	v_cndmask_b32_e64 v5, -v54, v54, s[18:19]
	s_waitcnt lgkmcnt(2)
	v_add_f32_e32 v5, v5, v4
	;; [unrolled: 3-line block ×3, first 2 shown]
	ds_bpermute_b32 v6, v91, v57
	v_cndmask_b32_e64 v8, -v56, v56, s[18:19]
	s_waitcnt lgkmcnt(1)
	v_add_f32_e32 v13, v8, v7
	ds_bpermute_b32 v7, v91, v58
	v_cndmask_b32_e64 v8, -v57, v57, s[18:19]
	s_waitcnt lgkmcnt(1)
	v_add_f32_e32 v15, v8, v6
	;; [unrolled: 4-line block ×5, first 2 shown]
	ds_bpermute_b32 v7, v91, v62
	ds_bpermute_b32 v9, v91, v44
	;; [unrolled: 1-line block ×3, first 2 shown]
	v_cndmask_b32_e64 v8, -v61, v61, s[18:19]
	ds_bpermute_b32 v11, v91, v63
	s_waitcnt lgkmcnt(4)
	v_add_f32_e32 v6, v8, v6
	v_cndmask_b32_e64 v8, -v62, v62, s[18:19]
	ds_bpermute_b32 v29, v91, v50
	s_waitcnt lgkmcnt(4)
	v_add_f32_e32 v8, v8, v7
	;; [unrolled: 4-line block ×3, first 2 shown]
	v_cndmask_b32_e64 v9, -v64, v64, s[18:19]
	s_waitcnt lgkmcnt(3)
	v_add_f32_e32 v9, v9, v10
	v_cndmask_b32_e64 v10, -v63, v63, s[18:19]
	s_waitcnt lgkmcnt(2)
	v_add_f32_e32 v10, v10, v11
	v_cndmask_b32_e64 v11, -v50, v50, s[18:19]
	s_waitcnt lgkmcnt(1)
	v_add_f32_e32 v11, v11, v29
	ds_bpermute_b32 v29, v91, v72
	v_cndmask_b32_e64 v36, -v36, v36, s[18:19]
	s_waitcnt lgkmcnt(1)
	v_add_f32_e32 v66, v36, v31
	ds_bpermute_b32 v31, v91, v73
	v_cndmask_b32_e64 v36, -v72, v72, s[18:19]
	s_waitcnt lgkmcnt(1)
	v_add_f32_e32 v65, v36, v29
	;; [unrolled: 4-line block ×20, first 2 shown]
	v_cndmask_b32_e64 v29, -v87, v87, s[18:19]
	ds_bpermute_b32 v30, v91, v88
	s_waitcnt lgkmcnt(1)
	v_add_f32_e32 v36, v29, v28
	ds_bpermute_b32 v28, v91, v89
	v_cndmask_b32_e64 v29, -v88, v88, s[18:19]
	ds_bpermute_b32 v43, v91, v90
	s_waitcnt lgkmcnt(2)
	v_add_f32_e32 v38, v29, v30
	v_cndmask_b32_e64 v29, -v89, v89, s[18:19]
	s_waitcnt lgkmcnt(1)
	v_add_f32_e32 v39, v29, v28
	v_xor_b32_e32 v29, 8, v1
	v_cmp_lt_i32_e64 s[4:5], v29, v3
	v_cndmask_b32_e64 v29, v1, v29, s[4:5]
	v_lshlrev_b32_e32 v44, 2, v29
	v_cndmask_b32_e64 v28, -v90, v90, s[18:19]
	ds_bpermute_b32 v48, v44, v92
	ds_bpermute_b32 v49, v44, v93
	;; [unrolled: 1-line block ×4, first 2 shown]
	s_waitcnt lgkmcnt(4)
	v_add_f32_e32 v30, v28, v43
	v_and_b32_e32 v28, 8, v0
	v_cmp_eq_u32_e64 s[22:23], 0, v28
	v_xor_b32_e32 v28, 16, v1
	v_cmp_lt_i32_e64 s[4:5], v28, v3
	v_cndmask_b32_e64 v50, -v92, v92, s[22:23]
	v_cndmask_b32_e64 v51, -v93, v93, s[22:23]
	v_cndmask_b32_e64 v28, v1, v28, s[4:5]
	v_cndmask_b32_e64 v72, -v94, v94, s[22:23]
	v_cndmask_b32_e64 v73, -v95, v95, s[22:23]
	v_lshlrev_b32_e32 v28, 2, v28
	s_waitcnt lgkmcnt(2)
	v_pk_add_f32 v[48:49], v[50:51], v[48:49]
	s_waitcnt lgkmcnt(0)
	v_pk_add_f32 v[68:69], v[72:73], v[68:69]
	ds_bpermute_b32 v50, v28, v48
	ds_bpermute_b32 v51, v28, v49
	;; [unrolled: 1-line block ×4, first 2 shown]
	v_and_b32_e32 v29, 16, v0
	v_cmp_eq_u32_e64 s[18:19], 0, v29
	v_xor_b32_e32 v29, 32, v1
	v_cmp_lt_i32_e64 s[4:5], v29, v3
	v_cndmask_b32_e64 v49, -v49, v49, s[18:19]
	v_cndmask_b32_e64 v48, -v48, v48, s[18:19]
	v_cndmask_b32_e64 v1, v1, v29, s[4:5]
	v_cndmask_b32_e64 v69, -v69, v69, s[18:19]
	v_cndmask_b32_e64 v68, -v68, v68, s[18:19]
	v_lshlrev_b32_e32 v29, 2, v1
	s_waitcnt lgkmcnt(2)
	v_pk_add_f32 v[48:49], v[48:49], v[50:51]
	s_waitcnt lgkmcnt(0)
	v_pk_add_f32 v[68:69], v[68:69], v[72:73]
	ds_bpermute_b32 v50, v29, v48
	ds_bpermute_b32 v51, v29, v49
	;; [unrolled: 1-line block ×4, first 2 shown]
	v_and_b32_e32 v43, 32, v0
	v_cmp_eq_u32_e64 s[20:21], 0, v43
	v_cndmask_b32_e64 v49, -v49, v49, s[20:21]
	v_cndmask_b32_e64 v48, -v48, v48, s[20:21]
	;; [unrolled: 1-line block ×4, first 2 shown]
	ds_bpermute_b32 v74, v44, v96
	ds_bpermute_b32 v75, v44, v97
	s_waitcnt lgkmcnt(4)
	v_pk_add_f32 v[48:49], v[48:49], v[50:51]
	s_waitcnt lgkmcnt(2)
	v_pk_add_f32 v[50:51], v[68:69], v[72:73]
	ds_bpermute_b32 v68, v44, v98
	ds_bpermute_b32 v69, v44, v99
	v_lshrrev_b32_e32 v1, 6, v0
	v_xor_b32_e32 v1, v1, v0
	v_cndmask_b32_e64 v76, -v96, v96, s[22:23]
	v_cndmask_b32_e64 v77, -v97, v97, s[22:23]
	;; [unrolled: 1-line block ×4, first 2 shown]
	v_lshl_add_u32 v72, v1, 4, 0
	s_waitcnt lgkmcnt(0)
	s_barrier
	ds_write_b128 v72, v[48:51]
	v_pk_add_f32 v[48:49], v[76:77], v[74:75]
	v_pk_add_f32 v[68:69], v[78:79], v[68:69]
	ds_bpermute_b32 v50, v28, v48
	ds_bpermute_b32 v51, v28, v49
	;; [unrolled: 1-line block ×4, first 2 shown]
	v_cndmask_b32_e64 v49, -v49, v49, s[18:19]
	v_cndmask_b32_e64 v48, -v48, v48, s[18:19]
	;; [unrolled: 1-line block ×4, first 2 shown]
	s_waitcnt lgkmcnt(2)
	v_pk_add_f32 v[48:49], v[48:49], v[50:51]
	s_waitcnt lgkmcnt(0)
	v_pk_add_f32 v[68:69], v[68:69], v[74:75]
	ds_bpermute_b32 v50, v29, v48
	ds_bpermute_b32 v51, v29, v49
	;; [unrolled: 1-line block ×6, first 2 shown]
	v_cndmask_b32_e64 v49, -v49, v49, s[20:21]
	v_cndmask_b32_e64 v48, -v48, v48, s[20:21]
	;; [unrolled: 1-line block ×6, first 2 shown]
	s_waitcnt lgkmcnt(4)
	v_pk_add_f32 v[48:49], v[48:49], v[50:51]
	s_waitcnt lgkmcnt(2)
	v_pk_add_f32 v[50:51], v[68:69], v[74:75]
	ds_bpermute_b32 v74, v44, v35
	v_cndmask_b32_e64 v82, -v35, v35, s[22:23]
	ds_bpermute_b32 v75, v44, v40
	v_cndmask_b32_e64 v83, -v40, v40, s[22:23]
	ds_write_b128 v72, v[48:51] offset:4096
	ds_bpermute_b32 v40, v44, v34
	v_cndmask_b32_e64 v48, -v34, v34, s[22:23]
	s_waitcnt lgkmcnt(4)
	v_pk_add_f32 v[34:35], v[42:43], v[80:81]
	ds_bpermute_b32 v76, v44, v25
	ds_bpermute_b32 v77, v44, v27
	ds_bpermute_b32 v42, v28, v34
	ds_bpermute_b32 v43, v28, v35
	v_cndmask_b32_e64 v78, -v25, v25, s[22:23]
	v_cndmask_b32_e64 v79, -v27, v27, s[22:23]
	ds_bpermute_b32 v69, v44, v33
	v_cndmask_b32_e64 v27, -v33, v33, s[22:23]
	ds_bpermute_b32 v41, v44, v32
	v_cndmask_b32_e64 v49, -v32, v32, s[22:23]
	v_cndmask_b32_e64 v33, -v35, v35, s[18:19]
	v_cndmask_b32_e64 v32, -v34, v34, s[18:19]
	s_waitcnt lgkmcnt(2)
	v_pk_add_f32 v[32:33], v[32:33], v[42:43]
	v_pk_add_f32 v[42:43], v[78:79], v[76:77]
	ds_bpermute_b32 v50, v28, v42
	ds_bpermute_b32 v51, v28, v43
	v_cndmask_b32_e64 v43, -v43, v43, s[18:19]
	v_cndmask_b32_e64 v42, -v42, v42, s[18:19]
	ds_bpermute_b32 v68, v44, v26
	ds_bpermute_b32 v34, v29, v32
	s_waitcnt lgkmcnt(2)
	v_pk_add_f32 v[42:43], v[42:43], v[50:51]
	ds_bpermute_b32 v35, v29, v33
	ds_bpermute_b32 v50, v29, v42
	;; [unrolled: 1-line block ×3, first 2 shown]
	v_cndmask_b32_e64 v26, -v26, v26, s[22:23]
	v_cndmask_b32_e64 v33, -v33, v33, s[20:21]
	;; [unrolled: 1-line block ×5, first 2 shown]
	ds_bpermute_b32 v77, v44, v19
	v_cndmask_b32_e64 v79, -v19, v19, s[22:23]
	s_waitcnt lgkmcnt(3)
	v_pk_add_f32 v[32:33], v[32:33], v[34:35]
	s_waitcnt lgkmcnt(1)
	v_pk_add_f32 v[34:35], v[42:43], v[50:51]
	ds_bpermute_b32 v42, v44, v18
	v_cndmask_b32_e64 v50, -v18, v18, s[22:23]
	v_pk_add_f32 v[18:19], v[26:27], v[68:69]
	ds_bpermute_b32 v80, v44, v23
	v_cndmask_b32_e64 v84, -v23, v23, s[22:23]
	ds_bpermute_b32 v81, v44, v24
	v_cndmask_b32_e64 v85, -v24, v24, s[22:23]
	ds_write_b128 v72, v[32:35] offset:8192
	ds_bpermute_b32 v24, v44, v22
	v_cndmask_b32_e64 v32, -v22, v22, s[22:23]
	ds_bpermute_b32 v22, v28, v18
	ds_bpermute_b32 v23, v28, v19
	v_cndmask_b32_e64 v19, -v19, v19, s[18:19]
	v_cndmask_b32_e64 v18, -v18, v18, s[18:19]
	ds_bpermute_b32 v43, v44, v21
	v_cndmask_b32_e64 v51, -v21, v21, s[22:23]
	s_waitcnt lgkmcnt(1)
	v_pk_add_f32 v[18:19], v[18:19], v[22:23]
	v_pk_add_f32 v[22:23], v[82:83], v[74:75]
	ds_bpermute_b32 v26, v28, v22
	ds_bpermute_b32 v27, v28, v23
	v_cndmask_b32_e64 v23, -v23, v23, s[18:19]
	v_cndmask_b32_e64 v22, -v22, v22, s[18:19]
	ds_bpermute_b32 v25, v44, v20
	v_cndmask_b32_e64 v33, -v20, v20, s[22:23]
	s_waitcnt lgkmcnt(1)
	v_pk_add_f32 v[22:23], v[22:23], v[26:27]
	ds_bpermute_b32 v20, v29, v18
	ds_bpermute_b32 v21, v29, v19
	;; [unrolled: 1-line block ×4, first 2 shown]
	v_cndmask_b32_e64 v19, -v19, v19, s[20:21]
	v_cndmask_b32_e64 v18, -v18, v18, s[20:21]
	v_cndmask_b32_e64 v23, -v23, v23, s[20:21]
	v_cndmask_b32_e64 v22, -v22, v22, s[20:21]
	ds_bpermute_b32 v34, v44, v2
	v_cndmask_b32_e64 v68, -v2, v2, s[22:23]
	s_waitcnt lgkmcnt(3)
	v_pk_add_f32 v[18:19], v[18:19], v[20:21]
	s_waitcnt lgkmcnt(1)
	v_pk_add_f32 v[20:21], v[22:23], v[26:27]
	ds_bpermute_b32 v26, v44, v4
	v_cndmask_b32_e64 v74, -v4, v4, s[22:23]
	ds_bpermute_b32 v82, v44, v15
	v_cndmask_b32_e64 v86, -v15, v15, s[22:23]
	;; [unrolled: 2-line block ×3, first 2 shown]
	v_pk_add_f32 v[14:15], v[48:49], v[40:41]
	ds_bpermute_b32 v76, v44, v17
	v_cndmask_b32_e64 v78, -v17, v17, s[22:23]
	ds_bpermute_b32 v83, v44, v16
	v_cndmask_b32_e64 v87, -v16, v16, s[22:23]
	ds_bpermute_b32 v16, v28, v14
	ds_bpermute_b32 v17, v28, v15
	;; [unrolled: 1-line block ×3, first 2 shown]
	v_cndmask_b32_e64 v69, -v5, v5, s[22:23]
	ds_bpermute_b32 v27, v44, v13
	v_cndmask_b32_e64 v75, -v13, v13, s[22:23]
	ds_bpermute_b32 v3, v44, v12
	v_cndmask_b32_e64 v5, -v12, v12, s[22:23]
	v_cndmask_b32_e64 v13, -v15, v15, s[18:19]
	;; [unrolled: 1-line block ×3, first 2 shown]
	s_waitcnt lgkmcnt(3)
	v_pk_add_f32 v[12:13], v[12:13], v[16:17]
	v_pk_add_f32 v[16:17], v[78:79], v[76:77]
	ds_write_b128 v72, v[18:21] offset:12288
	ds_bpermute_b32 v18, v28, v16
	ds_bpermute_b32 v19, v28, v17
	v_cndmask_b32_e64 v17, -v17, v17, s[18:19]
	v_cndmask_b32_e64 v16, -v16, v16, s[18:19]
	v_and_b32_e32 v1, 3, v0
	v_lshrrev_b32_e32 v0, 2, v0
	s_waitcnt lgkmcnt(0)
	v_pk_add_f32 v[16:17], v[16:17], v[18:19]
	ds_bpermute_b32 v18, v29, v16
	ds_bpermute_b32 v19, v29, v17
	v_lshl_or_b32 v0, v1, 6, v0
	v_cndmask_b32_e64 v21, -v17, v17, s[20:21]
	v_cndmask_b32_e64 v20, -v16, v16, s[20:21]
	ds_bpermute_b32 v77, v44, v8
	v_cndmask_b32_e64 v79, -v8, v8, s[22:23]
	v_xor_b32_e32 v8, v0, v1
	v_pk_add_f32 v[0:1], v[50:51], v[42:43]
	ds_bpermute_b32 v76, v44, v6
	v_cndmask_b32_e64 v78, -v6, v6, s[22:23]
	s_waitcnt lgkmcnt(2)
	v_pk_add_f32 v[18:19], v[20:21], v[18:19]
	ds_bpermute_b32 v20, v44, v7
	v_cndmask_b32_e64 v22, -v7, v7, s[22:23]
	ds_bpermute_b32 v6, v28, v0
	ds_bpermute_b32 v7, v28, v1
	;; [unrolled: 1-line block ×4, first 2 shown]
	v_cndmask_b32_e64 v1, -v1, v1, s[18:19]
	v_cndmask_b32_e64 v0, -v0, v0, s[18:19]
	s_waitcnt lgkmcnt(2)
	v_pk_add_f32 v[0:1], v[0:1], v[6:7]
	v_cndmask_b32_e64 v13, -v13, v13, s[20:21]
	v_cndmask_b32_e64 v12, -v12, v12, s[20:21]
	ds_bpermute_b32 v21, v44, v9
	v_cndmask_b32_e64 v23, -v9, v9, s[22:23]
	v_lshl_add_u32 v73, v8, 4, 0
	ds_bpermute_b32 v6, v29, v0
	ds_bpermute_b32 v7, v29, v1
	v_pk_add_f32 v[8:9], v[84:85], v[80:81]
	s_waitcnt lgkmcnt(3)
	v_pk_add_f32 v[16:17], v[12:13], v[14:15]
	ds_bpermute_b32 v12, v44, v10
	v_cndmask_b32_e64 v14, -v10, v10, s[22:23]
	ds_bpermute_b32 v13, v44, v11
	v_cndmask_b32_e64 v15, -v11, v11, s[22:23]
	ds_bpermute_b32 v10, v28, v8
	ds_bpermute_b32 v11, v28, v9
	v_cndmask_b32_e64 v1, -v1, v1, s[20:21]
	v_cndmask_b32_e64 v0, -v0, v0, s[20:21]
	s_waitcnt lgkmcnt(4)
	v_pk_add_f32 v[6:7], v[0:1], v[6:7]
	v_cndmask_b32_e64 v1, -v9, v9, s[18:19]
	v_cndmask_b32_e64 v0, -v8, v8, s[18:19]
	s_waitcnt lgkmcnt(0)
	v_pk_add_f32 v[0:1], v[0:1], v[10:11]
	ds_bpermute_b32 v8, v29, v0
	ds_bpermute_b32 v9, v29, v1
	v_pk_add_f32 v[10:11], v[32:33], v[24:25]
	ds_write_b128 v72, v[16:19] offset:16384
	ds_bpermute_b32 v16, v28, v10
	ds_bpermute_b32 v17, v28, v11
	v_cndmask_b32_e64 v1, -v1, v1, s[20:21]
	v_cndmask_b32_e64 v0, -v0, v0, s[20:21]
	s_waitcnt lgkmcnt(3)
	v_pk_add_f32 v[8:9], v[0:1], v[8:9]
	v_cndmask_b32_e64 v1, -v11, v11, s[18:19]
	v_cndmask_b32_e64 v0, -v10, v10, s[18:19]
	s_waitcnt lgkmcnt(0)
	v_pk_add_f32 v[0:1], v[0:1], v[16:17]
	ds_write_b128 v72, v[6:9] offset:20480
	ds_bpermute_b32 v6, v29, v0
	ds_bpermute_b32 v7, v29, v1
	v_pk_add_f32 v[8:9], v[68:69], v[34:35]
	ds_bpermute_b32 v10, v28, v8
	ds_bpermute_b32 v11, v28, v9
	v_cndmask_b32_e64 v1, -v1, v1, s[20:21]
	v_cndmask_b32_e64 v0, -v0, v0, s[20:21]
	s_waitcnt lgkmcnt(2)
	v_pk_add_f32 v[6:7], v[0:1], v[6:7]
	v_cndmask_b32_e64 v1, -v9, v9, s[18:19]
	v_cndmask_b32_e64 v0, -v8, v8, s[18:19]
	s_waitcnt lgkmcnt(0)
	v_pk_add_f32 v[0:1], v[0:1], v[10:11]
	ds_bpermute_b32 v8, v29, v0
	ds_bpermute_b32 v9, v29, v1
	v_cndmask_b32_e64 v1, -v1, v1, s[20:21]
	v_cndmask_b32_e64 v0, -v0, v0, s[20:21]
	v_pk_add_f32 v[10:11], v[74:75], v[26:27]
	ds_bpermute_b32 v16, v28, v10
	s_waitcnt lgkmcnt(1)
	v_pk_add_f32 v[8:9], v[0:1], v[8:9]
	ds_bpermute_b32 v17, v28, v11
	ds_write_b128 v72, v[6:9] offset:24576
	v_pk_add_f32 v[8:9], v[86:87], v[82:83]
	v_cndmask_b32_e64 v1, -v11, v11, s[18:19]
	v_cndmask_b32_e64 v0, -v10, v10, s[18:19]
	ds_bpermute_b32 v10, v28, v8
	ds_bpermute_b32 v11, v28, v9
	s_waitcnt lgkmcnt(3)
	v_pk_add_f32 v[0:1], v[0:1], v[16:17]
	v_cndmask_b32_e64 v9, -v9, v9, s[18:19]
	v_cndmask_b32_e64 v8, -v8, v8, s[18:19]
	ds_bpermute_b32 v6, v29, v0
	ds_bpermute_b32 v7, v29, v1
	s_waitcnt lgkmcnt(2)
	v_pk_add_f32 v[8:9], v[8:9], v[10:11]
	ds_bpermute_b32 v10, v29, v8
	ds_bpermute_b32 v11, v29, v9
	v_cndmask_b32_e64 v1, -v1, v1, s[20:21]
	v_cndmask_b32_e64 v0, -v0, v0, s[20:21]
	s_waitcnt lgkmcnt(2)
	v_pk_add_f32 v[6:7], v[0:1], v[6:7]
	v_cndmask_b32_e64 v1, -v9, v9, s[20:21]
	v_cndmask_b32_e64 v0, -v8, v8, s[20:21]
	s_waitcnt lgkmcnt(0)
	v_pk_add_f32 v[8:9], v[0:1], v[10:11]
	v_pk_add_f32 v[0:1], v[4:5], v[2:3]
	ds_write_b128 v72, v[6:9] offset:28672
	ds_bpermute_b32 v2, v28, v0
	ds_bpermute_b32 v3, v28, v1
	v_pk_add_f32 v[8:9], v[78:79], v[76:77]
	ds_bpermute_b32 v10, v28, v8
	ds_bpermute_b32 v11, v28, v9
	v_cndmask_b32_e64 v1, -v1, v1, s[18:19]
	v_cndmask_b32_e64 v0, -v0, v0, s[18:19]
	s_waitcnt lgkmcnt(2)
	v_pk_add_f32 v[0:1], v[0:1], v[2:3]
	v_cndmask_b32_e64 v9, -v9, v9, s[18:19]
	v_cndmask_b32_e64 v8, -v8, v8, s[18:19]
	v_pk_add_f32 v[20:21], v[22:23], v[20:21]
	v_pk_add_f32 v[12:13], v[14:15], v[12:13]
	ds_bpermute_b32 v2, v29, v0
	ds_bpermute_b32 v3, v29, v1
	s_waitcnt lgkmcnt(2)
	v_pk_add_f32 v[8:9], v[8:9], v[10:11]
	ds_bpermute_b32 v22, v28, v20
	ds_bpermute_b32 v23, v28, v21
	ds_bpermute_b32 v14, v28, v12
	ds_bpermute_b32 v15, v28, v13
	ds_bpermute_b32 v10, v29, v8
	ds_bpermute_b32 v11, v29, v9
	v_cndmask_b32_e64 v1, -v1, v1, s[20:21]
	v_cndmask_b32_e64 v0, -v0, v0, s[20:21]
	;; [unrolled: 1-line block ×6, first 2 shown]
	s_waitcnt lgkmcnt(6)
	v_pk_add_f32 v[74:75], v[0:1], v[2:3]
	v_cndmask_b32_e64 v1, -v9, v9, s[20:21]
	v_cndmask_b32_e64 v0, -v8, v8, s[20:21]
	s_waitcnt lgkmcnt(4)
	v_pk_add_f32 v[20:21], v[20:21], v[22:23]
	s_waitcnt lgkmcnt(2)
	v_pk_add_f32 v[12:13], v[12:13], v[14:15]
	;; [unrolled: 2-line block ×3, first 2 shown]
	ds_bpermute_b32 v22, v29, v20
	ds_bpermute_b32 v23, v29, v21
	;; [unrolled: 1-line block ×4, first 2 shown]
	s_waitcnt lgkmcnt(0)
	s_barrier
	ds_read_b128 v[48:51], v73
	ds_read_b128 v[40:43], v73 offset:4096
	ds_read_b128 v[32:35], v73 offset:8192
	;; [unrolled: 1-line block ×7, first 2 shown]
	s_waitcnt lgkmcnt(0)
	s_barrier
	ds_write_b128 v72, v[74:77]
	ds_bpermute_b32 v68, v44, v66
	ds_bpermute_b32 v69, v44, v65
	ds_bpermute_b32 v76, v44, v57
	ds_bpermute_b32 v77, v44, v59
	v_cndmask_b32_e64 v21, -v21, v21, s[20:21]
	v_cndmask_b32_e64 v20, -v20, v20, s[20:21]
	;; [unrolled: 1-line block ×8, first 2 shown]
	v_pk_add_f32 v[12:13], v[20:21], v[22:23]
	v_pk_add_f32 v[14:15], v[74:75], v[14:15]
	ds_bpermute_b32 v20, v44, v58
	v_cndmask_b32_e64 v22, -v58, v58, s[22:23]
	ds_bpermute_b32 v21, v44, v61
	v_cndmask_b32_e64 v23, -v61, v61, s[22:23]
	;; [unrolled: 2-line block ×3, first 2 shown]
	ds_write_b128 v72, v[12:15] offset:4096
	s_waitcnt lgkmcnt(6)
	v_pk_add_f32 v[12:13], v[66:67], v[68:69]
	ds_bpermute_b32 v65, v44, v60
	v_cndmask_b32_e64 v63, -v60, v60, s[22:23]
	s_waitcnt lgkmcnt(5)
	v_pk_add_f32 v[60:61], v[78:79], v[76:77]
	ds_bpermute_b32 v14, v28, v12
	ds_bpermute_b32 v15, v28, v13
	;; [unrolled: 1-line block ×4, first 2 shown]
	v_cndmask_b32_e64 v13, -v13, v13, s[18:19]
	v_cndmask_b32_e64 v12, -v12, v12, s[18:19]
	v_cndmask_b32_e64 v61, -v61, v61, s[18:19]
	v_cndmask_b32_e64 v60, -v60, v60, s[18:19]
	s_waitcnt lgkmcnt(2)
	v_pk_add_f32 v[12:13], v[12:13], v[14:15]
	s_waitcnt lgkmcnt(0)
	v_pk_add_f32 v[60:61], v[60:61], v[66:67]
	ds_bpermute_b32 v14, v29, v12
	ds_bpermute_b32 v15, v29, v13
	;; [unrolled: 1-line block ×5, first 2 shown]
	v_cndmask_b32_e64 v13, -v13, v13, s[20:21]
	v_cndmask_b32_e64 v12, -v12, v12, s[20:21]
	;; [unrolled: 1-line block ×5, first 2 shown]
	s_waitcnt lgkmcnt(3)
	v_pk_add_f32 v[12:13], v[12:13], v[14:15]
	s_waitcnt lgkmcnt(1)
	v_pk_add_f32 v[14:15], v[60:61], v[66:67]
	ds_write_b128 v72, v[12:15] offset:8192
	v_pk_add_f32 v[12:13], v[22:23], v[20:21]
	s_waitcnt lgkmcnt(1)
	v_pk_add_f32 v[20:21], v[74:75], v[58:59]
	ds_bpermute_b32 v14, v28, v12
	ds_bpermute_b32 v15, v28, v13
	;; [unrolled: 1-line block ×4, first 2 shown]
	v_cndmask_b32_e64 v13, -v13, v13, s[18:19]
	v_cndmask_b32_e64 v12, -v12, v12, s[18:19]
	;; [unrolled: 1-line block ×4, first 2 shown]
	s_waitcnt lgkmcnt(2)
	v_pk_add_f32 v[12:13], v[12:13], v[14:15]
	s_waitcnt lgkmcnt(0)
	v_pk_add_f32 v[20:21], v[20:21], v[22:23]
	ds_bpermute_b32 v64, v44, v62
	ds_bpermute_b32 v14, v29, v12
	;; [unrolled: 1-line block ×5, first 2 shown]
	v_cndmask_b32_e64 v62, -v62, v62, s[22:23]
	v_cndmask_b32_e64 v13, -v13, v13, s[20:21]
	;; [unrolled: 1-line block ×5, first 2 shown]
	ds_bpermute_b32 v68, v44, v45
	v_cndmask_b32_e64 v76, -v45, v45, s[22:23]
	ds_bpermute_b32 v69, v44, v47
	v_cndmask_b32_e64 v77, -v47, v47, s[22:23]
	ds_bpermute_b32 v60, v44, v46
	ds_bpermute_b32 v61, v44, v53
	v_cndmask_b32_e64 v47, -v53, v53, s[22:23]
	ds_bpermute_b32 v66, v44, v55
	v_cndmask_b32_e64 v78, -v55, v55, s[22:23]
	;; [unrolled: 2-line block ×3, first 2 shown]
	ds_bpermute_b32 v56, v44, v54
	ds_bpermute_b32 v57, v44, v52
	v_cndmask_b32_e64 v55, -v52, v52, s[22:23]
	ds_bpermute_b32 v52, v44, v31
	ds_bpermute_b32 v53, v44, v37
	v_cndmask_b32_e64 v59, -v37, v37, s[22:23]
	s_waitcnt lgkmcnt(12)
	v_pk_add_f32 v[12:13], v[12:13], v[14:15]
	s_waitcnt lgkmcnt(10)
	v_pk_add_f32 v[14:15], v[20:21], v[22:23]
	ds_bpermute_b32 v20, v44, v36
	v_cndmask_b32_e64 v22, -v36, v36, s[22:23]
	ds_bpermute_b32 v21, v44, v38
	ds_bpermute_b32 v36, v44, v39
	;; [unrolled: 1-line block ×3, first 2 shown]
	v_pk_add_f32 v[44:45], v[62:63], v[64:65]
	ds_bpermute_b32 v62, v28, v44
	ds_bpermute_b32 v63, v28, v45
	ds_write_b128 v72, v[12:15] offset:12288
	v_cndmask_b32_e64 v13, -v45, v45, s[18:19]
	v_cndmask_b32_e64 v12, -v44, v44, s[18:19]
	;; [unrolled: 1-line block ×3, first 2 shown]
	s_waitcnt lgkmcnt(1)
	v_pk_add_f32 v[12:13], v[12:13], v[62:63]
	v_cndmask_b32_e64 v23, -v38, v38, s[22:23]
	v_cndmask_b32_e64 v38, -v39, v39, s[22:23]
	;; [unrolled: 1-line block ×3, first 2 shown]
	ds_bpermute_b32 v14, v29, v12
	ds_bpermute_b32 v15, v29, v13
	v_pk_add_f32 v[30:31], v[76:77], v[68:69]
	ds_bpermute_b32 v44, v28, v30
	ds_bpermute_b32 v45, v28, v31
	v_cndmask_b32_e64 v13, -v13, v13, s[20:21]
	v_cndmask_b32_e64 v12, -v12, v12, s[20:21]
	s_waitcnt lgkmcnt(2)
	v_pk_add_f32 v[12:13], v[12:13], v[14:15]
	v_cndmask_b32_e64 v15, -v31, v31, s[18:19]
	v_cndmask_b32_e64 v14, -v30, v30, s[18:19]
	s_waitcnt lgkmcnt(0)
	v_pk_add_f32 v[14:15], v[14:15], v[44:45]
	v_cndmask_b32_e64 v46, -v46, v46, s[22:23]
	ds_bpermute_b32 v30, v29, v14
	ds_bpermute_b32 v31, v29, v15
	v_pk_add_f32 v[44:45], v[46:47], v[60:61]
	ds_bpermute_b32 v46, v28, v44
	ds_bpermute_b32 v47, v28, v45
	v_cndmask_b32_e64 v15, -v15, v15, s[20:21]
	v_cndmask_b32_e64 v14, -v14, v14, s[20:21]
	s_waitcnt lgkmcnt(2)
	v_pk_add_f32 v[14:15], v[14:15], v[30:31]
	ds_write_b128 v72, v[12:15] offset:16384
	v_cndmask_b32_e64 v13, -v45, v45, s[18:19]
	v_cndmask_b32_e64 v12, -v44, v44, s[18:19]
	s_waitcnt lgkmcnt(1)
	v_pk_add_f32 v[12:13], v[12:13], v[46:47]
	ds_bpermute_b32 v14, v29, v12
	ds_bpermute_b32 v15, v29, v13
	v_pk_add_f32 v[30:31], v[78:79], v[66:67]
	ds_bpermute_b32 v44, v28, v30
	ds_bpermute_b32 v45, v28, v31
	v_cndmask_b32_e64 v13, -v13, v13, s[20:21]
	v_cndmask_b32_e64 v12, -v12, v12, s[20:21]
	s_waitcnt lgkmcnt(2)
	v_pk_add_f32 v[12:13], v[12:13], v[14:15]
	v_cndmask_b32_e64 v15, -v31, v31, s[18:19]
	v_cndmask_b32_e64 v14, -v30, v30, s[18:19]
	s_waitcnt lgkmcnt(0)
	v_pk_add_f32 v[14:15], v[14:15], v[44:45]
	v_cndmask_b32_e64 v54, -v54, v54, s[22:23]
	ds_bpermute_b32 v30, v29, v14
	ds_bpermute_b32 v31, v29, v15
	v_pk_add_f32 v[44:45], v[54:55], v[56:57]
	ds_bpermute_b32 v46, v28, v44
	ds_bpermute_b32 v47, v28, v45
	v_cndmask_b32_e64 v15, -v15, v15, s[20:21]
	v_cndmask_b32_e64 v14, -v14, v14, s[20:21]
	s_waitcnt lgkmcnt(2)
	v_pk_add_f32 v[14:15], v[14:15], v[30:31]
	ds_write_b128 v72, v[12:15] offset:20480
	v_cndmask_b32_e64 v13, -v45, v45, s[18:19]
	v_cndmask_b32_e64 v12, -v44, v44, s[18:19]
	s_waitcnt lgkmcnt(1)
	v_pk_add_f32 v[12:13], v[12:13], v[46:47]
	ds_bpermute_b32 v14, v29, v12
	ds_bpermute_b32 v15, v29, v13
	v_pk_add_f32 v[30:31], v[58:59], v[52:53]
	ds_bpermute_b32 v44, v28, v30
	ds_bpermute_b32 v45, v28, v31
	v_cndmask_b32_e64 v13, -v13, v13, s[20:21]
	v_cndmask_b32_e64 v12, -v12, v12, s[20:21]
	s_waitcnt lgkmcnt(2)
	v_pk_add_f32 v[12:13], v[12:13], v[14:15]
	v_cndmask_b32_e64 v15, -v31, v31, s[18:19]
	v_cndmask_b32_e64 v14, -v30, v30, s[18:19]
	s_waitcnt lgkmcnt(0)
	v_pk_add_f32 v[14:15], v[14:15], v[44:45]
	ds_bpermute_b32 v30, v29, v14
	ds_bpermute_b32 v31, v29, v15
	v_pk_add_f32 v[20:21], v[22:23], v[20:21]
	ds_bpermute_b32 v22, v28, v20
	ds_bpermute_b32 v23, v28, v21
	v_cndmask_b32_e64 v15, -v15, v15, s[20:21]
	v_cndmask_b32_e64 v14, -v14, v14, s[20:21]
	s_waitcnt lgkmcnt(2)
	v_pk_add_f32 v[14:15], v[14:15], v[30:31]
	ds_write_b128 v72, v[12:15] offset:24576
	v_cndmask_b32_e64 v13, -v21, v21, s[18:19]
	v_cndmask_b32_e64 v12, -v20, v20, s[18:19]
	v_pk_add_f32 v[20:21], v[38:39], v[36:37]
	s_waitcnt lgkmcnt(1)
	v_pk_add_f32 v[12:13], v[12:13], v[22:23]
	ds_bpermute_b32 v22, v28, v20
	ds_bpermute_b32 v23, v28, v21
	;; [unrolled: 1-line block ×6, first 2 shown]
	v_cndmask_b32_e64 v21, -v21, v21, s[18:19]
	v_cndmask_b32_e64 v20, -v20, v20, s[18:19]
	;; [unrolled: 1-line block ×6, first 2 shown]
	ds_bpermute_b32 v14, v29, v12
	ds_bpermute_b32 v15, v29, v13
	s_waitcnt lgkmcnt(6)
	v_pk_add_f32 v[20:21], v[20:21], v[22:23]
	s_waitcnt lgkmcnt(2)
	v_pk_add_f32 v[50:51], v[50:51], v[66:67]
	v_pk_add_f32 v[48:49], v[48:49], v[64:65]
	ds_bpermute_b32 v22, v29, v20
	ds_bpermute_b32 v23, v29, v21
	;; [unrolled: 1-line block ×10, first 2 shown]
	v_cndmask_b32_e64 v13, -v13, v13, s[20:21]
	v_cndmask_b32_e64 v12, -v12, v12, s[20:21]
	s_waitcnt lgkmcnt(10)
	v_pk_add_f32 v[12:13], v[12:13], v[14:15]
	v_cndmask_b32_e64 v15, -v21, v21, s[20:21]
	v_cndmask_b32_e64 v14, -v20, v20, s[20:21]
	;; [unrolled: 1-line block ×10, first 2 shown]
	s_waitcnt lgkmcnt(8)
	v_pk_add_f32 v[14:15], v[14:15], v[22:23]
	s_waitcnt lgkmcnt(2)
	v_pk_add_f32 v[50:51], v[50:51], v[66:67]
	v_pk_add_f32 v[48:49], v[48:49], v[64:65]
	s_waitcnt lgkmcnt(0)
	v_pk_add_f32 v[42:43], v[42:43], v[74:75]
	v_pk_add_f32 v[40:41], v[40:41], v[68:69]
	ds_write_b128 v72, v[12:15] offset:28672
	s_waitcnt lgkmcnt(0)
	s_barrier
	ds_read_b128 v[60:63], v73
	ds_read_b128 v[56:59], v73 offset:4096
	ds_read_b128 v[52:55], v73 offset:8192
	ds_read_b128 v[44:47], v73 offset:12288
	ds_read_b128 v[36:39], v73 offset:16384
	ds_read_b128 v[28:31], v73 offset:20480
	ds_read_b128 v[20:23], v73 offset:24576
	ds_read_b128 v[12:15], v73 offset:28672
	ds_bpermute_b32 v64, v70, v32
	ds_bpermute_b32 v65, v70, v33
	;; [unrolled: 1-line block ×4, first 2 shown]
	s_waitcnt lgkmcnt(0)
	s_barrier
	ds_write_b128 v73, v[48:51]
	ds_bpermute_b32 v50, v71, v40
	ds_bpermute_b32 v51, v71, v41
	ds_bpermute_b32 v68, v71, v42
	ds_bpermute_b32 v69, v71, v43
	v_cndmask_b32_e64 v41, -v41, v41, s[16:17]
	v_cndmask_b32_e64 v40, -v40, v40, s[16:17]
	v_cndmask_b32_e64 v43, -v43, v43, s[16:17]
	v_cndmask_b32_e64 v42, -v42, v42, s[16:17]
	v_cndmask_b32_e64 v33, -v33, v33, s[14:15]
	v_cndmask_b32_e64 v32, -v32, v32, s[14:15]
	v_cndmask_b32_e64 v35, -v35, v35, s[14:15]
	v_cndmask_b32_e64 v34, -v34, v34, s[14:15]
	s_waitcnt lgkmcnt(0)
	v_pk_add_f32 v[42:43], v[42:43], v[68:69]
	v_pk_add_f32 v[40:41], v[40:41], v[50:51]
	v_pk_add_f32 v[34:35], v[34:35], v[66:67]
	v_pk_add_f32 v[32:33], v[32:33], v[64:65]
	ds_bpermute_b32 v48, v70, v24
	ds_bpermute_b32 v49, v70, v25
	ds_bpermute_b32 v74, v70, v26
	ds_bpermute_b32 v75, v70, v27
	ds_write_b128 v73, v[40:43] offset:4096
	ds_bpermute_b32 v42, v71, v32
	ds_bpermute_b32 v43, v71, v33
	ds_bpermute_b32 v64, v71, v34
	ds_bpermute_b32 v65, v71, v35
	v_cndmask_b32_e64 v33, -v33, v33, s[16:17]
	v_cndmask_b32_e64 v32, -v32, v32, s[16:17]
	v_cndmask_b32_e64 v35, -v35, v35, s[16:17]
	v_cndmask_b32_e64 v34, -v34, v34, s[16:17]
	v_cndmask_b32_e64 v25, -v25, v25, s[14:15]
	v_cndmask_b32_e64 v24, -v24, v24, s[14:15]
	v_cndmask_b32_e64 v27, -v27, v27, s[14:15]
	v_cndmask_b32_e64 v26, -v26, v26, s[14:15]
	s_waitcnt lgkmcnt(0)
	v_pk_add_f32 v[34:35], v[34:35], v[64:65]
	v_pk_add_f32 v[32:33], v[32:33], v[42:43]
	v_pk_add_f32 v[26:27], v[26:27], v[74:75]
	v_pk_add_f32 v[24:25], v[24:25], v[48:49]
	ds_bpermute_b32 v50, v70, v16
	ds_bpermute_b32 v51, v70, v17
	ds_bpermute_b32 v76, v70, v18
	ds_bpermute_b32 v77, v70, v19
	ds_write_b128 v73, v[32:35] offset:8192
	;; [unrolled: 22-line block ×3, first 2 shown]
	ds_bpermute_b32 v24, v71, v16
	ds_bpermute_b32 v25, v71, v17
	;; [unrolled: 1-line block ×4, first 2 shown]
	v_cndmask_b32_e64 v17, -v17, v17, s[16:17]
	v_cndmask_b32_e64 v16, -v16, v16, s[16:17]
	;; [unrolled: 1-line block ×8, first 2 shown]
	s_waitcnt lgkmcnt(0)
	v_pk_add_f32 v[18:19], v[18:19], v[26:27]
	v_pk_add_f32 v[16:17], v[16:17], v[24:25]
	;; [unrolled: 1-line block ×4, first 2 shown]
	ds_write_b128 v73, v[16:19] offset:16384
	ds_bpermute_b32 v16, v71, v4
	ds_bpermute_b32 v17, v71, v5
	;; [unrolled: 1-line block ×8, first 2 shown]
	v_cndmask_b32_e64 v5, -v5, v5, s[16:17]
	v_cndmask_b32_e64 v4, -v4, v4, s[16:17]
	;; [unrolled: 1-line block ×4, first 2 shown]
	s_waitcnt lgkmcnt(4)
	v_pk_add_f32 v[6:7], v[6:7], v[18:19]
	v_pk_add_f32 v[4:5], v[4:5], v[16:17]
	ds_write_b128 v73, v[4:7] offset:20480
	v_cndmask_b32_e64 v5, -v9, v9, s[14:15]
	v_cndmask_b32_e64 v4, -v8, v8, s[14:15]
	;; [unrolled: 1-line block ×4, first 2 shown]
	s_waitcnt lgkmcnt(1)
	v_pk_add_f32 v[6:7], v[6:7], v[80:81]
	v_pk_add_f32 v[4:5], v[4:5], v[42:43]
	ds_bpermute_b32 v32, v70, v0
	ds_bpermute_b32 v33, v70, v1
	;; [unrolled: 1-line block ×12, first 2 shown]
	v_cndmask_b32_e64 v5, -v5, v5, s[16:17]
	v_cndmask_b32_e64 v4, -v4, v4, s[16:17]
	;; [unrolled: 1-line block ×12, first 2 shown]
	s_waitcnt lgkmcnt(0)
	v_pk_add_f32 v[6:7], v[6:7], v[10:11]
	v_pk_add_f32 v[4:5], v[4:5], v[8:9]
	;; [unrolled: 1-line block ×6, first 2 shown]
	ds_bpermute_b32 v68, v70, v56
	ds_bpermute_b32 v69, v70, v57
	;; [unrolled: 1-line block ×4, first 2 shown]
	ds_write_b128 v73, v[4:7] offset:24576
	ds_bpermute_b32 v4, v71, v0
	ds_bpermute_b32 v5, v71, v1
	;; [unrolled: 1-line block ×8, first 2 shown]
	v_cndmask_b32_e64 v1, -v1, v1, s[16:17]
	v_cndmask_b32_e64 v0, -v0, v0, s[16:17]
	;; [unrolled: 1-line block ×12, first 2 shown]
	s_waitcnt lgkmcnt(4)
	v_pk_add_f32 v[2:3], v[2:3], v[6:7]
	v_pk_add_f32 v[0:1], v[0:1], v[4:5]
	s_waitcnt lgkmcnt(0)
	v_pk_add_f32 v[62:63], v[42:43], v[50:51]
	v_pk_add_f32 v[60:61], v[40:41], v[48:49]
	;; [unrolled: 1-line block ×4, first 2 shown]
	ds_bpermute_b32 v64, v70, v52
	ds_bpermute_b32 v65, v70, v53
	;; [unrolled: 1-line block ×4, first 2 shown]
	ds_write_b128 v73, v[0:3] offset:28672
	s_waitcnt lgkmcnt(0)
	s_barrier
	ds_read_b128 v[0:3], v72
	ds_read_b128 v[4:7], v72 offset:4096
	ds_read_b128 v[24:27], v72 offset:8192
	;; [unrolled: 1-line block ×7, first 2 shown]
	s_waitcnt lgkmcnt(0)
	s_barrier
	ds_write_b128 v73, v[60:63]
	ds_bpermute_b32 v62, v71, v56
	ds_bpermute_b32 v63, v71, v57
	ds_bpermute_b32 v68, v71, v58
	ds_bpermute_b32 v69, v71, v59
	v_cndmask_b32_e64 v57, -v57, v57, s[16:17]
	v_cndmask_b32_e64 v56, -v56, v56, s[16:17]
	v_cndmask_b32_e64 v59, -v59, v59, s[16:17]
	v_cndmask_b32_e64 v58, -v58, v58, s[16:17]
	v_cndmask_b32_e64 v53, -v53, v53, s[14:15]
	v_cndmask_b32_e64 v52, -v52, v52, s[14:15]
	v_cndmask_b32_e64 v55, -v55, v55, s[14:15]
	v_cndmask_b32_e64 v54, -v54, v54, s[14:15]
	s_waitcnt lgkmcnt(0)
	v_pk_add_f32 v[58:59], v[58:59], v[68:69]
	v_pk_add_f32 v[56:57], v[56:57], v[62:63]
	v_pk_add_f32 v[54:55], v[54:55], v[66:67]
	v_pk_add_f32 v[52:53], v[52:53], v[64:65]
	ds_bpermute_b32 v60, v70, v44
	ds_bpermute_b32 v61, v70, v45
	ds_bpermute_b32 v74, v70, v46
	ds_bpermute_b32 v75, v70, v47
	ds_write_b128 v73, v[56:59] offset:4096
	ds_bpermute_b32 v58, v71, v52
	ds_bpermute_b32 v59, v71, v53
	ds_bpermute_b32 v64, v71, v54
	ds_bpermute_b32 v65, v71, v55
	v_cndmask_b32_e64 v53, -v53, v53, s[16:17]
	v_cndmask_b32_e64 v52, -v52, v52, s[16:17]
	v_cndmask_b32_e64 v55, -v55, v55, s[16:17]
	v_cndmask_b32_e64 v54, -v54, v54, s[16:17]
	v_cndmask_b32_e64 v45, -v45, v45, s[14:15]
	v_cndmask_b32_e64 v44, -v44, v44, s[14:15]
	v_cndmask_b32_e64 v47, -v47, v47, s[14:15]
	v_cndmask_b32_e64 v46, -v46, v46, s[14:15]
	s_waitcnt lgkmcnt(0)
	v_pk_add_f32 v[54:55], v[54:55], v[64:65]
	v_pk_add_f32 v[52:53], v[52:53], v[58:59]
	v_pk_add_f32 v[46:47], v[46:47], v[74:75]
	v_pk_add_f32 v[44:45], v[44:45], v[60:61]
	ds_bpermute_b32 v62, v70, v36
	ds_bpermute_b32 v63, v70, v37
	ds_bpermute_b32 v68, v70, v38
	ds_bpermute_b32 v69, v70, v39
	ds_write_b128 v73, v[52:55] offset:8192
	;; [unrolled: 22-line block ×5, first 2 shown]
	ds_bpermute_b32 v28, v71, v20
	ds_bpermute_b32 v29, v71, v21
	;; [unrolled: 1-line block ×4, first 2 shown]
	v_cndmask_b32_e64 v21, -v21, v21, s[16:17]
	v_cndmask_b32_e64 v20, -v20, v20, s[16:17]
	v_cndmask_b32_e64 v23, -v23, v23, s[16:17]
	v_cndmask_b32_e64 v22, -v22, v22, s[16:17]
	v_cndmask_b32_e64 v13, -v13, v13, s[14:15]
	v_cndmask_b32_e64 v12, -v12, v12, s[14:15]
	v_cndmask_b32_e64 v15, -v15, v15, s[14:15]
	v_cndmask_b32_e64 v14, -v14, v14, s[14:15]
	s_waitcnt lgkmcnt(0)
	v_pk_add_f32 v[22:23], v[22:23], v[30:31]
	v_pk_add_f32 v[20:21], v[20:21], v[28:29]
	;; [unrolled: 1-line block ×4, first 2 shown]
	ds_write_b128 v73, v[20:23] offset:24576
	ds_bpermute_b32 v20, v71, v12
	ds_bpermute_b32 v21, v71, v13
	;; [unrolled: 1-line block ×4, first 2 shown]
	v_cndmask_b32_e64 v13, -v13, v13, s[16:17]
	v_cndmask_b32_e64 v12, -v12, v12, s[16:17]
	;; [unrolled: 1-line block ×4, first 2 shown]
	s_waitcnt lgkmcnt(0)
	v_pk_add_f32 v[14:15], v[14:15], v[22:23]
	v_pk_add_f32 v[12:13], v[12:13], v[20:21]
	ds_write_b128 v73, v[12:15] offset:28672
	s_waitcnt lgkmcnt(0)
	s_barrier
	ds_read_b128 v[20:23], v72
	ds_read_b128 v[12:15], v72 offset:4096
	ds_read_b128 v[52:55], v72 offset:8192
	;; [unrolled: 1-line block ×7, first 2 shown]
	s_mul_i32 s4, s38, s7
	s_mul_hi_u32 s5, s38, s6
	s_add_i32 s4, s5, s4
	s_mul_i32 s5, s39, s6
	s_add_i32 s5, s4, s5
	s_mul_i32 s4, s38, s6
	s_lshl_b64 s[4:5], s[4:5], 1
	s_add_u32 s4, s28, s4
	v_pk_add_f32 v[82:83], v[2:3], v[26:27]
	v_pk_add_f32 v[80:81], v[0:1], v[24:25]
	;; [unrolled: 1-line block ×4, first 2 shown]
	s_waitcnt lgkmcnt(5)
	v_pk_add_f32 v[90:91], v[22:23], v[54:55]
	v_pk_add_f32 v[86:87], v[20:21], v[52:53]
	s_waitcnt lgkmcnt(1)
	v_pk_add_f32 v[94:95], v[38:39], v[62:63]
	v_pk_add_f32 v[92:93], v[36:37], v[60:61]
	;; [unrolled: 1-line block ×8, first 2 shown]
	s_waitcnt lgkmcnt(0)
	v_pk_add_f32 v[110:111], v[30:31], v[58:59]
	v_pk_add_f32 v[108:109], v[28:29], v[56:57]
	s_addc_u32 s5, s29, s5
	s_mov_b32 s41, s40
	s_mov_b32 s6, s40
	s_mov_b32 s7, s40
	v_pk_add_f32 v[64:65], v[82:83], v[88:89]
	v_pk_add_f32 v[66:67], v[80:81], v[84:85]
	;; [unrolled: 1-line block ×8, first 2 shown]
	s_and_saveexec_b64 s[14:15], s[12:13]
	s_cbranch_execz .LBB24_18
; %bb.17:
	v_pk_add_f32 v[114:115], v[68:69], v[64:65]
	v_pk_mul_f32 v[114:115], s[6:7], v[114:115]
	v_pk_add_f32 v[116:117], v[70:71], v[66:67]
	v_cvt_f16_f32_e32 v113, v115
	v_cvt_f16_f32_e32 v120, v114
	v_pk_add_f32 v[114:115], v[76:77], v[72:73]
	v_pk_add_f32 v[118:119], v[78:79], v[74:75]
	v_pk_mul_f32 v[116:117], s[40:41], v[116:117]
	v_pk_mul_f32 v[114:115], s[6:7], v[114:115]
	;; [unrolled: 1-line block ×3, first 2 shown]
	v_cvt_f16_f32_e32 v121, v117
	v_cvt_f16_f32_e32 v115, v115
	;; [unrolled: 1-line block ×6, first 2 shown]
	v_pack_b32_f16 v117, v114, v115
	v_pack_b32_f16 v115, v120, v113
	;; [unrolled: 1-line block ×4, first 2 shown]
	global_store_dwordx4 v112, v[114:117], s[4:5]
.LBB24_18:
	s_or_b64 exec, exec, s[14:15]
	v_sub_f32_e32 v115, v3, v27
	v_sub_f32_e32 v114, v2, v26
	;; [unrolled: 1-line block ×32, first 2 shown]
	v_pk_add_f32 v[0:1], v[114:115], v[118:119]
	v_pk_add_f32 v[2:3], v[112:113], v[116:117]
	;; [unrolled: 1-line block ×8, first 2 shown]
	s_and_saveexec_b64 s[12:13], s[10:11]
	s_cbranch_execz .LBB24_20
; %bb.19:
	v_pk_add_f32 v[16:17], v[6:7], v[0:1]
	v_pk_mul_f32 v[16:17], s[6:7], v[16:17]
	v_pk_add_f32 v[18:19], v[10:11], v[2:3]
	v_cvt_f16_f32_e32 v22, v17
	v_cvt_f16_f32_e32 v23, v16
	v_pk_add_f32 v[16:17], v[12:13], v[4:5]
	v_pk_add_f32 v[20:21], v[14:15], v[8:9]
	v_pk_mul_f32 v[18:19], s[40:41], v[18:19]
	v_pk_mul_f32 v[16:17], s[6:7], v[16:17]
	;; [unrolled: 1-line block ×3, first 2 shown]
	v_cvt_f16_f32_e32 v24, v19
	v_cvt_f16_f32_e32 v17, v17
	;; [unrolled: 1-line block ×6, first 2 shown]
	v_pack_b32_f16 v19, v16, v17
	v_pack_b32_f16 v17, v23, v22
	;; [unrolled: 1-line block ×4, first 2 shown]
	global_store_dwordx4 v130, v[16:19], s[4:5]
.LBB24_20:
	s_or_b64 exec, exec, s[12:13]
	v_sub_f32_e32 v23, v83, v89
	v_sub_f32_e32 v22, v82, v88
	;; [unrolled: 1-line block ×16, first 2 shown]
	s_and_saveexec_b64 s[10:11], s[8:9]
	s_cbranch_execz .LBB24_22
; %bb.21:
	v_pk_add_f32 v[32:33], v[22:23], v[28:29]
	v_pk_mul_f32 v[32:33], s[6:7], v[32:33]
	v_pk_add_f32 v[36:37], v[26:27], v[30:31]
	v_cvt_f16_f32_e32 v56, v33
	v_cvt_f16_f32_e32 v57, v32
	v_pk_add_f32 v[32:33], v[16:17], v[20:21]
	v_pk_add_f32 v[38:39], v[18:19], v[24:25]
	v_pk_mul_f32 v[36:37], s[40:41], v[36:37]
	v_pk_mul_f32 v[32:33], s[6:7], v[32:33]
	;; [unrolled: 1-line block ×3, first 2 shown]
	v_cvt_f16_f32_e32 v58, v37
	v_cvt_f16_f32_e32 v33, v33
	;; [unrolled: 1-line block ×6, first 2 shown]
	v_pack_b32_f16 v39, v32, v33
	v_pack_b32_f16 v37, v57, v56
	v_pack_b32_f16 v38, v38, v59
	v_pack_b32_f16 v36, v36, v58
	global_store_dwordx4 v129, v[36:39], s[4:5]
.LBB24_22:
	s_or_b64 exec, exec, s[10:11]
	v_sub_f32_e32 v33, v115, v119
	v_sub_f32_e32 v32, v114, v118
	;; [unrolled: 1-line block ×16, first 2 shown]
	s_and_saveexec_b64 s[8:9], s[26:27]
	s_cbranch_execnz .LBB24_28
; %bb.23:
	s_or_b64 exec, exec, s[8:9]
	s_and_saveexec_b64 s[8:9], s[24:25]
	s_cbranch_execnz .LBB24_29
.LBB24_24:
	s_or_b64 exec, exec, s[8:9]
	s_and_saveexec_b64 s[8:9], s[2:3]
	s_cbranch_execnz .LBB24_30
.LBB24_25:
	s_or_b64 exec, exec, s[8:9]
	s_and_saveexec_b64 s[2:3], s[0:1]
	s_cbranch_execnz .LBB24_31
.LBB24_26:
	s_or_b64 exec, exec, s[2:3]
	s_and_saveexec_b64 s[0:1], vcc
	s_cbranch_execnz .LBB24_32
.LBB24_27:
	s_endpgm
.LBB24_28:
	v_pk_add_f32 v[48:49], v[32:33], v[40:41]
	v_pk_mul_f32 v[48:49], s[6:7], v[48:49]
	v_pk_add_f32 v[50:51], v[36:37], v[44:45]
	v_cvt_f16_f32_e32 v54, v49
	v_cvt_f16_f32_e32 v55, v48
	v_pk_add_f32 v[48:49], v[34:35], v[42:43]
	v_pk_add_f32 v[52:53], v[38:39], v[46:47]
	v_pk_mul_f32 v[50:51], s[40:41], v[50:51]
	v_pk_mul_f32 v[48:49], s[6:7], v[48:49]
	;; [unrolled: 1-line block ×3, first 2 shown]
	v_cvt_f16_f32_e32 v56, v51
	v_cvt_f16_f32_e32 v49, v49
	;; [unrolled: 1-line block ×6, first 2 shown]
	v_pack_b32_f16 v51, v48, v49
	v_pack_b32_f16 v49, v55, v54
	;; [unrolled: 1-line block ×4, first 2 shown]
	global_store_dwordx4 v128, v[48:51], s[4:5]
	s_or_b64 exec, exec, s[8:9]
	s_and_saveexec_b64 s[8:9], s[24:25]
	s_cbranch_execz .LBB24_24
.LBB24_29:
	v_sub_f32_e32 v49, v67, v71
	v_sub_f32_e32 v48, v66, v70
	;; [unrolled: 1-line block ×8, first 2 shown]
	v_pk_mul_f32 v[50:51], s[6:7], v[50:51]
	v_pk_mul_f32 v[48:49], s[40:41], v[48:49]
	;; [unrolled: 1-line block ×4, first 2 shown]
	v_cvt_f16_f32_e32 v56, v49
	v_cvt_f16_f32_e32 v49, v51
	;; [unrolled: 1-line block ×8, first 2 shown]
	v_pack_b32_f16 v51, v54, v51
	v_pack_b32_f16 v50, v52, v53
	v_pack_b32_f16 v49, v55, v49
	v_pack_b32_f16 v48, v48, v56
	global_store_dwordx4 v127, v[48:51], s[4:5]
	s_or_b64 exec, exec, s[8:9]
	s_and_saveexec_b64 s[8:9], s[2:3]
	s_cbranch_execz .LBB24_25
.LBB24_30:
	v_sub_f32_e32 v3, v3, v11
	v_sub_f32_e32 v2, v2, v10
	;; [unrolled: 1-line block ×8, first 2 shown]
	v_pk_mul_f32 v[0:1], s[6:7], v[0:1]
	v_pk_mul_f32 v[2:3], s[40:41], v[2:3]
	;; [unrolled: 1-line block ×4, first 2 shown]
	v_cvt_f16_f32_e32 v10, v3
	v_cvt_f16_f32_e32 v1, v1
	;; [unrolled: 1-line block ×8, first 2 shown]
	v_pack_b32_f16 v3, v4, v3
	v_pack_b32_f16 v2, v5, v7
	;; [unrolled: 1-line block ×4, first 2 shown]
	global_store_dwordx4 v126, v[0:3], s[4:5]
	s_or_b64 exec, exec, s[8:9]
	s_and_saveexec_b64 s[2:3], s[0:1]
	s_cbranch_execz .LBB24_26
.LBB24_31:
	v_sub_f32_e32 v1, v27, v31
	v_sub_f32_e32 v0, v26, v30
	;; [unrolled: 1-line block ×8, first 2 shown]
	v_pk_mul_f32 v[2:3], s[6:7], v[2:3]
	v_pk_mul_f32 v[0:1], s[40:41], v[0:1]
	v_pk_mul_f32 v[6:7], s[6:7], v[6:7]
	v_pk_mul_f32 v[4:5], s[40:41], v[4:5]
	v_cvt_f16_f32_e32 v8, v1
	v_cvt_f16_f32_e32 v1, v3
	;; [unrolled: 1-line block ×8, first 2 shown]
	v_pack_b32_f16 v3, v6, v3
	v_pack_b32_f16 v2, v4, v5
	;; [unrolled: 1-line block ×4, first 2 shown]
	global_store_dwordx4 v125, v[0:3], s[4:5]
	s_or_b64 exec, exec, s[2:3]
	s_and_saveexec_b64 s[0:1], vcc
	s_cbranch_execz .LBB24_27
.LBB24_32:
	v_sub_f32_e32 v1, v37, v45
	v_sub_f32_e32 v0, v36, v44
	;; [unrolled: 1-line block ×8, first 2 shown]
	v_pk_mul_f32 v[2:3], s[6:7], v[2:3]
	v_pk_mul_f32 v[0:1], s[40:41], v[0:1]
	;; [unrolled: 1-line block ×4, first 2 shown]
	v_cvt_f16_f32_e32 v8, v1
	v_cvt_f16_f32_e32 v1, v3
	;; [unrolled: 1-line block ×8, first 2 shown]
	v_pack_b32_f16 v3, v6, v3
	v_pack_b32_f16 v2, v4, v5
	v_pack_b32_f16 v1, v7, v1
	v_pack_b32_f16 v0, v0, v8
	global_store_dwordx4 v124, v[0:3], s[4:5]
	s_endpgm
	.section	.rodata,"a",@progbits
	.p2align	6, 0x0
	.amdhsa_kernel _Z30fast_hadamard_transform_kernelI37fast_hadamard_transform_kernel_traitsILi256ELi14E6__halfEEv18HadamardParamsBase
		.amdhsa_group_segment_fixed_size 0
		.amdhsa_private_segment_fixed_size 0
		.amdhsa_kernarg_size 312
		.amdhsa_user_sgpr_count 6
		.amdhsa_user_sgpr_private_segment_buffer 1
		.amdhsa_user_sgpr_dispatch_ptr 0
		.amdhsa_user_sgpr_queue_ptr 0
		.amdhsa_user_sgpr_kernarg_segment_ptr 1
		.amdhsa_user_sgpr_dispatch_id 0
		.amdhsa_user_sgpr_flat_scratch_init 0
		.amdhsa_user_sgpr_kernarg_preload_length 0
		.amdhsa_user_sgpr_kernarg_preload_offset 0
		.amdhsa_user_sgpr_private_segment_size 0
		.amdhsa_uses_dynamic_stack 0
		.amdhsa_system_sgpr_private_segment_wavefront_offset 0
		.amdhsa_system_sgpr_workgroup_id_x 1
		.amdhsa_system_sgpr_workgroup_id_y 0
		.amdhsa_system_sgpr_workgroup_id_z 0
		.amdhsa_system_sgpr_workgroup_info 0
		.amdhsa_system_vgpr_workitem_id 0
		.amdhsa_next_free_vgpr 150
		.amdhsa_next_free_sgpr 44
		.amdhsa_accum_offset 152
		.amdhsa_reserve_vcc 1
		.amdhsa_reserve_flat_scratch 0
		.amdhsa_float_round_mode_32 0
		.amdhsa_float_round_mode_16_64 0
		.amdhsa_float_denorm_mode_32 3
		.amdhsa_float_denorm_mode_16_64 3
		.amdhsa_dx10_clamp 1
		.amdhsa_ieee_mode 1
		.amdhsa_fp16_overflow 0
		.amdhsa_tg_split 0
		.amdhsa_exception_fp_ieee_invalid_op 0
		.amdhsa_exception_fp_denorm_src 0
		.amdhsa_exception_fp_ieee_div_zero 0
		.amdhsa_exception_fp_ieee_overflow 0
		.amdhsa_exception_fp_ieee_underflow 0
		.amdhsa_exception_fp_ieee_inexact 0
		.amdhsa_exception_int_div_zero 0
	.end_amdhsa_kernel
	.section	.text._Z30fast_hadamard_transform_kernelI37fast_hadamard_transform_kernel_traitsILi256ELi14E6__halfEEv18HadamardParamsBase,"axG",@progbits,_Z30fast_hadamard_transform_kernelI37fast_hadamard_transform_kernel_traitsILi256ELi14E6__halfEEv18HadamardParamsBase,comdat
.Lfunc_end24:
	.size	_Z30fast_hadamard_transform_kernelI37fast_hadamard_transform_kernel_traitsILi256ELi14E6__halfEEv18HadamardParamsBase, .Lfunc_end24-_Z30fast_hadamard_transform_kernelI37fast_hadamard_transform_kernel_traitsILi256ELi14E6__halfEEv18HadamardParamsBase
                                        ; -- End function
	.section	.AMDGPU.csdata,"",@progbits
; Kernel info:
; codeLenInByte = 16676
; NumSgprs: 48
; NumVgprs: 150
; NumAgprs: 0
; TotalNumVgprs: 150
; ScratchSize: 0
; MemoryBound: 0
; FloatMode: 240
; IeeeMode: 1
; LDSByteSize: 0 bytes/workgroup (compile time only)
; SGPRBlocks: 5
; VGPRBlocks: 18
; NumSGPRsForWavesPerEU: 48
; NumVGPRsForWavesPerEU: 150
; AccumOffset: 152
; Occupancy: 3
; WaveLimiterHint : 0
; COMPUTE_PGM_RSRC2:SCRATCH_EN: 0
; COMPUTE_PGM_RSRC2:USER_SGPR: 6
; COMPUTE_PGM_RSRC2:TRAP_HANDLER: 0
; COMPUTE_PGM_RSRC2:TGID_X_EN: 1
; COMPUTE_PGM_RSRC2:TGID_Y_EN: 0
; COMPUTE_PGM_RSRC2:TGID_Z_EN: 0
; COMPUTE_PGM_RSRC2:TIDIG_COMP_CNT: 0
; COMPUTE_PGM_RSRC3_GFX90A:ACCUM_OFFSET: 37
; COMPUTE_PGM_RSRC3_GFX90A:TG_SPLIT: 0
	.section	.text._Z30fast_hadamard_transform_kernelI37fast_hadamard_transform_kernel_traitsILi256ELi15E6__halfEEv18HadamardParamsBase,"axG",@progbits,_Z30fast_hadamard_transform_kernelI37fast_hadamard_transform_kernel_traitsILi256ELi15E6__halfEEv18HadamardParamsBase,comdat
	.protected	_Z30fast_hadamard_transform_kernelI37fast_hadamard_transform_kernel_traitsILi256ELi15E6__halfEEv18HadamardParamsBase ; -- Begin function _Z30fast_hadamard_transform_kernelI37fast_hadamard_transform_kernel_traitsILi256ELi15E6__halfEEv18HadamardParamsBase
	.globl	_Z30fast_hadamard_transform_kernelI37fast_hadamard_transform_kernel_traitsILi256ELi15E6__halfEEv18HadamardParamsBase
	.p2align	8
	.type	_Z30fast_hadamard_transform_kernelI37fast_hadamard_transform_kernel_traitsILi256ELi15E6__halfEEv18HadamardParamsBase,@function
_Z30fast_hadamard_transform_kernelI37fast_hadamard_transform_kernel_traitsILi256ELi15E6__halfEEv18HadamardParamsBase: ; @_Z30fast_hadamard_transform_kernelI37fast_hadamard_transform_kernel_traitsILi256ELi15E6__halfEEv18HadamardParamsBase
; %bb.0:
	s_load_dwordx8 s[40:47], s[4:5], 0x10
	s_load_dword s33, s[4:5], 0x4
	s_ashr_i32 s7, s6, 31
	s_load_dword s2, s[4:5], 0x44
	v_lshlrev_b32_e32 v1, 3, v0
	s_waitcnt lgkmcnt(0)
	s_mul_hi_u32 s0, s40, s6
	s_mul_i32 s1, s40, s7
	s_add_i32 s0, s0, s1
	s_mul_i32 s1, s41, s6
	s_add_i32 s1, s0, s1
	s_mul_i32 s0, s40, s6
	s_lshl_b64 s[0:1], s[0:1], 1
	s_add_u32 s30, s46, s0
	v_cmp_gt_u32_e64 s[28:29], s33, v1
	v_lshlrev_b32_e32 v1, 4, v0
	s_addc_u32 s31, s47, s1
	v_mov_b32_e32 v2, 0
	v_accvgpr_write_b32 a15, v1
	v_mov_b32_e32 v230, 0
	v_mov_b32_e32 v231, 0
	;; [unrolled: 1-line block ×8, first 2 shown]
	s_and_saveexec_b64 s[0:1], s[28:29]
	s_cbranch_execz .LBB25_2
; %bb.1:
	v_accvgpr_read_b32 v1, a15
	global_load_dwordx4 v[6:9], v1, s[30:31]
	s_waitcnt vmcnt(0)
	v_cvt_f32_f16_e32 v20, v6
	v_cvt_f32_f16_sdwa v21, v6 dst_sel:DWORD dst_unused:UNUSED_PAD src0_sel:WORD_1
	v_cvt_f32_f16_e32 v14, v7
	v_cvt_f32_f16_sdwa v15, v7 dst_sel:DWORD dst_unused:UNUSED_PAD src0_sel:WORD_1
	;; [unrolled: 2-line block ×4, first 2 shown]
.LBB25_2:
	s_or_b64 exec, exec, s[0:1]
	s_and_b32 s34, 0xffff, s2
	v_add_u32_e32 v1, s34, v0
	v_accvgpr_write_b32 a16, v0
	v_lshlrev_b32_e32 v0, 3, v1
	v_cmp_gt_u32_e64 s[26:27], s33, v0
	v_lshlrev_b32_e32 v0, 4, v1
	v_accvgpr_write_b32 a14, v0
	v_mov_b32_e32 v3, 0
	v_mov_b32_e32 v12, 0
	v_mov_b32_e32 v13, 0
	v_mov_b32_e32 v18, 0
	v_mov_b32_e32 v19, 0
	v_mov_b32_e32 v30, 0
	v_mov_b32_e32 v31, 0
	s_and_saveexec_b64 s[0:1], s[26:27]
	s_cbranch_execz .LBB25_4
; %bb.3:
	v_accvgpr_read_b32 v0, a14
	global_load_dwordx4 v[8:11], v0, s[30:31]
	s_waitcnt vmcnt(0)
	v_cvt_f32_f16_e32 v30, v8
	v_cvt_f32_f16_sdwa v31, v8 dst_sel:DWORD dst_unused:UNUSED_PAD src0_sel:WORD_1
	v_cvt_f32_f16_e32 v18, v9
	v_cvt_f32_f16_sdwa v19, v9 dst_sel:DWORD dst_unused:UNUSED_PAD src0_sel:WORD_1
	v_cvt_f32_f16_e32 v12, v10
	v_cvt_f32_f16_sdwa v13, v10 dst_sel:DWORD dst_unused:UNUSED_PAD src0_sel:WORD_1
	v_cvt_f32_f16_e32 v2, v11
	v_cvt_f32_f16_sdwa v3, v11 dst_sel:DWORD dst_unused:UNUSED_PAD src0_sel:WORD_1
.LBB25_4:
	s_or_b64 exec, exec, s[0:1]
	v_add_u32_e32 v1, s34, v1
	v_lshlrev_b32_e32 v0, 3, v1
	v_cmp_gt_u32_e64 s[24:25], s33, v0
	v_lshlrev_b32_e32 v0, 4, v1
	v_mov_b32_e32 v8, 0
	v_accvgpr_write_b32 a13, v0
	v_mov_b32_e32 v214, 0
	v_mov_b32_e32 v215, 0
	v_mov_b32_e32 v16, 0
	v_mov_b32_e32 v17, 0
	v_mov_b32_e32 v28, 0
	v_mov_b32_e32 v29, 0
	v_mov_b32_e32 v36, 0
	v_mov_b32_e32 v37, 0
	s_and_saveexec_b64 s[0:1], s[24:25]
	s_cbranch_execz .LBB25_6
; %bb.5:
	v_accvgpr_read_b32 v0, a13
	global_load_dwordx4 v[22:25], v0, s[30:31]
	s_waitcnt vmcnt(0)
	v_cvt_f32_f16_e32 v36, v22
	v_cvt_f32_f16_sdwa v37, v22 dst_sel:DWORD dst_unused:UNUSED_PAD src0_sel:WORD_1
	v_cvt_f32_f16_e32 v28, v23
	v_cvt_f32_f16_sdwa v29, v23 dst_sel:DWORD dst_unused:UNUSED_PAD src0_sel:WORD_1
	v_cvt_f32_f16_e32 v16, v24
	v_cvt_f32_f16_sdwa v17, v24 dst_sel:DWORD dst_unused:UNUSED_PAD src0_sel:WORD_1
	v_cvt_f32_f16_e32 v214, v25
	v_cvt_f32_f16_sdwa v215, v25 dst_sel:DWORD dst_unused:UNUSED_PAD src0_sel:WORD_1
.LBB25_6:
	s_or_b64 exec, exec, s[0:1]
	v_add_u32_e32 v1, s34, v1
	v_lshlrev_b32_e32 v0, 3, v1
	v_cmp_gt_u32_e64 s[22:23], s33, v0
	v_lshlrev_b32_e32 v0, 4, v1
	v_accvgpr_write_b32 a12, v0
	v_mov_b32_e32 v9, 0
	v_mov_b32_e32 v26, 0
	v_mov_b32_e32 v27, 0
	v_mov_b32_e32 v34, 0
	v_mov_b32_e32 v35, 0
	v_mov_b32_e32 v46, 0
	v_mov_b32_e32 v47, 0
	s_and_saveexec_b64 s[0:1], s[22:23]
	s_cbranch_execz .LBB25_8
; %bb.7:
	v_accvgpr_read_b32 v0, a12
	global_load_dwordx4 v[22:25], v0, s[30:31]
	s_waitcnt vmcnt(0)
	v_cvt_f32_f16_e32 v46, v22
	v_cvt_f32_f16_sdwa v47, v22 dst_sel:DWORD dst_unused:UNUSED_PAD src0_sel:WORD_1
	v_cvt_f32_f16_e32 v34, v23
	v_cvt_f32_f16_sdwa v35, v23 dst_sel:DWORD dst_unused:UNUSED_PAD src0_sel:WORD_1
	v_cvt_f32_f16_e32 v26, v24
	v_cvt_f32_f16_sdwa v27, v24 dst_sel:DWORD dst_unused:UNUSED_PAD src0_sel:WORD_1
	v_cvt_f32_f16_e32 v8, v25
	v_cvt_f32_f16_sdwa v9, v25 dst_sel:DWORD dst_unused:UNUSED_PAD src0_sel:WORD_1
.LBB25_8:
	s_or_b64 exec, exec, s[0:1]
	v_add_u32_e32 v1, s34, v1
	v_lshlrev_b32_e32 v0, 3, v1
	v_cmp_gt_u32_e64 s[20:21], s33, v0
	v_lshlrev_b32_e32 v0, 4, v1
	v_mov_b32_e32 v216, 0
	v_accvgpr_write_b32 a11, v0
	v_mov_b32_e32 v24, 0
	v_mov_b32_e32 v25, 0
	v_mov_b32_e32 v32, 0
	v_mov_b32_e32 v33, 0
	v_mov_b32_e32 v44, 0
	v_mov_b32_e32 v45, 0
	v_mov_b32_e32 v52, 0
	v_mov_b32_e32 v53, 0
	s_and_saveexec_b64 s[0:1], s[20:21]
	s_cbranch_execz .LBB25_10
; %bb.9:
	v_accvgpr_read_b32 v0, a11
	global_load_dwordx4 v[38:41], v0, s[30:31]
	s_waitcnt vmcnt(0)
	v_cvt_f32_f16_e32 v52, v38
	v_cvt_f32_f16_sdwa v53, v38 dst_sel:DWORD dst_unused:UNUSED_PAD src0_sel:WORD_1
	v_cvt_f32_f16_e32 v44, v39
	v_cvt_f32_f16_sdwa v45, v39 dst_sel:DWORD dst_unused:UNUSED_PAD src0_sel:WORD_1
	v_cvt_f32_f16_e32 v32, v40
	v_cvt_f32_f16_sdwa v33, v40 dst_sel:DWORD dst_unused:UNUSED_PAD src0_sel:WORD_1
	v_cvt_f32_f16_e32 v24, v41
	v_cvt_f32_f16_sdwa v25, v41 dst_sel:DWORD dst_unused:UNUSED_PAD src0_sel:WORD_1
.LBB25_10:
	s_or_b64 exec, exec, s[0:1]
	v_add_u32_e32 v1, s34, v1
	;; [unrolled: 58-line block ×6, first 2 shown]
	v_lshlrev_b32_e32 v0, 3, v4
	v_cmp_gt_u32_e64 s[2:3], s33, v0
	v_mov_b32_e32 v91, 0
	v_mov_b32_e32 v104, 0
	;; [unrolled: 1-line block ×7, first 2 shown]
	s_and_saveexec_b64 s[0:1], s[2:3]
	s_cbranch_execz .LBB25_28
; %bb.27:
	v_mov_b32_e32 v5, 0
	v_lshlrev_b64 v[90:91], 4, v[4:5]
	v_mov_b32_e32 v0, s31
	v_add_co_u32_e32 v90, vcc, s30, v90
	v_addc_co_u32_e32 v91, vcc, v0, v91, vcc
	global_load_dwordx4 v[104:107], v[90:91], off
	s_waitcnt vmcnt(0)
	v_cvt_f32_f16_e32 v118, v104
	v_cvt_f32_f16_sdwa v119, v104 dst_sel:DWORD dst_unused:UNUSED_PAD src0_sel:WORD_1
	v_cvt_f32_f16_e32 v114, v105
	v_cvt_f32_f16_sdwa v115, v105 dst_sel:DWORD dst_unused:UNUSED_PAD src0_sel:WORD_1
	;; [unrolled: 2-line block ×4, first 2 shown]
.LBB25_28:
	s_or_b64 exec, exec, s[0:1]
	s_load_dwordx2 s[46:47], s[4:5], 0x30
	v_accvgpr_write_b32 a4, v4
	v_add_u32_e32 v4, s34, v4
	v_lshlrev_b32_e32 v0, 3, v4
	v_cmp_gt_u32_e64 s[0:1], s33, v0
	v_mov_b32_e32 v106, 0
	v_mov_b32_e32 v110, 0
	;; [unrolled: 1-line block ×9, first 2 shown]
	s_and_saveexec_b64 s[4:5], s[0:1]
	s_cbranch_execz .LBB25_30
; %bb.29:
	v_mov_b32_e32 v5, 0
	v_lshlrev_b64 v[110:111], 4, v[4:5]
	v_mov_b32_e32 v0, s31
	v_add_co_u32_e32 v110, vcc, s30, v110
	v_addc_co_u32_e32 v111, vcc, v0, v111, vcc
	global_load_dwordx4 v[120:123], v[110:111], off
	s_waitcnt vmcnt(0)
	v_cvt_f32_f16_e32 v124, v120
	v_cvt_f32_f16_sdwa v125, v120 dst_sel:DWORD dst_unused:UNUSED_PAD src0_sel:WORD_1
	v_cvt_f32_f16_e32 v120, v121
	v_cvt_f32_f16_sdwa v121, v121 dst_sel:DWORD dst_unused:UNUSED_PAD src0_sel:WORD_1
	;; [unrolled: 2-line block ×4, first 2 shown]
.LBB25_30:
	s_or_b64 exec, exec, s[4:5]
	v_add_u32_e32 v0, s34, v4
	v_accvgpr_write_b32 a0, v0
	v_lshlrev_b32_e32 v0, 3, v0
	v_accvgpr_write_b32 a2, v4
	v_cmp_gt_u32_e32 vcc, s33, v0
	v_mov_b32_e32 v107, 0
	v_mov_b32_e32 v122, 0
	;; [unrolled: 1-line block ×7, first 2 shown]
	s_and_saveexec_b64 s[34:35], vcc
	s_cbranch_execz .LBB25_32
; %bb.31:
	v_accvgpr_read_b32 v0, a0
	v_mov_b32_e32 v1, 0
	v_lshlrev_b64 v[106:107], 4, v[0:1]
	v_mov_b32_e32 v0, s31
	v_add_co_u32_e64 v106, s[4:5], s30, v106
	v_addc_co_u32_e64 v107, s[4:5], v0, v107, s[4:5]
	global_load_dwordx4 v[130:133], v[106:107], off
	s_waitcnt vmcnt(0)
	v_cvt_f32_f16_e32 v128, v130
	v_cvt_f32_f16_sdwa v129, v130 dst_sel:DWORD dst_unused:UNUSED_PAD src0_sel:WORD_1
	v_cvt_f32_f16_e32 v126, v131
	v_cvt_f32_f16_sdwa v127, v131 dst_sel:DWORD dst_unused:UNUSED_PAD src0_sel:WORD_1
	;; [unrolled: 2-line block ×4, first 2 shown]
.LBB25_32:
	s_or_b64 exec, exec, s[34:35]
	v_mov_b32_e32 v130, v21
	v_pk_add_f32 v[0:1], v[20:21], v[130:131] op_sel_hi:[1,0]
	v_accvgpr_write_b32 a47, v1
	v_accvgpr_write_b32 a46, v0
	v_pk_add_f32 v[0:1], v[20:21], v[130:131] op_sel_hi:[1,0] neg_lo:[0,1] neg_hi:[0,1]
	v_accvgpr_write_b32 a19, v1
	v_mov_b32_e32 v130, v31
	v_accvgpr_write_b32 a18, v0
	v_pk_add_f32 v[0:1], v[30:31], v[130:131] op_sel_hi:[1,0]
	v_accvgpr_write_b32 a49, v1
	v_accvgpr_write_b32 a48, v0
	v_pk_add_f32 v[0:1], v[30:31], v[130:131] op_sel_hi:[1,0] neg_lo:[0,1] neg_hi:[0,1]
	v_accvgpr_write_b32 a21, v1
	v_mov_b32_e32 v130, v37
	v_accvgpr_write_b32 a20, v0
	;; [unrolled: 7-line block ×4, first 2 shown]
	v_pk_add_f32 v[0:1], v[52:53], v[130:131] op_sel_hi:[1,0] neg_lo:[0,1] neg_hi:[0,1]
	v_pk_add_f32 v[140:141], v[52:53], v[130:131] op_sel_hi:[1,0]
	v_accvgpr_write_b32 a27, v1
	v_mov_b32_e32 v130, v63
	v_accvgpr_write_b32 a26, v0
	v_pk_add_f32 v[0:1], v[62:63], v[130:131] op_sel_hi:[1,0] neg_lo:[0,1] neg_hi:[0,1]
	v_pk_add_f32 v[142:143], v[130:131], v[62:63] op_sel_hi:[0,1]
	v_accvgpr_write_b32 a29, v1
	v_mov_b32_e32 v130, v69
	v_accvgpr_write_b32 a28, v0
	v_pk_add_f32 v[144:145], v[130:131], v[68:69] op_sel_hi:[0,1]
	v_pk_add_f32 v[0:1], v[68:69], v[130:131] op_sel_hi:[1,0] neg_lo:[0,1] neg_hi:[0,1]
	v_mov_b32_e32 v130, v79
	v_pk_add_f32 v[146:147], v[130:131], v[78:79] op_sel_hi:[0,1]
	v_pk_add_f32 v[78:79], v[78:79], v[130:131] op_sel_hi:[1,0] neg_lo:[0,1] neg_hi:[0,1]
	v_mov_b32_e32 v130, v85
	v_accvgpr_write_b32 a31, v1
	v_pk_add_f32 v[148:149], v[130:131], v[84:85] op_sel_hi:[0,1]
	v_pk_add_f32 v[84:85], v[84:85], v[130:131] op_sel_hi:[1,0] neg_lo:[0,1] neg_hi:[0,1]
	v_mov_b32_e32 v130, v95
	v_accvgpr_write_b32 a30, v0
	v_pk_add_f32 v[0:1], v[94:95], v[130:131] op_sel_hi:[1,0] neg_lo:[0,1] neg_hi:[0,1]
	v_pk_add_f32 v[150:151], v[130:131], v[94:95] op_sel_hi:[0,1]
	v_accvgpr_write_b32 a33, v1
	v_mov_b32_e32 v130, v101
	v_accvgpr_write_b32 a32, v0
	v_pk_add_f32 v[0:1], v[100:101], v[130:131] op_sel_hi:[1,0] neg_lo:[0,1] neg_hi:[0,1]
	v_pk_add_f32 v[152:153], v[130:131], v[100:101] op_sel_hi:[0,1]
	v_accvgpr_write_b32 a35, v1
	;; [unrolled: 5-line block ×6, first 2 shown]
	v_mov_b32_e32 v130, v129
	v_accvgpr_write_b32 a42, v0
	v_pk_add_f32 v[162:163], v[130:131], v[128:129] op_sel_hi:[0,1]
	v_pk_add_f32 v[0:1], v[128:129], v[130:131] op_sel_hi:[1,0] neg_lo:[0,1] neg_hi:[0,1]
	v_mov_b32_e32 v130, v15
	v_pk_add_f32 v[164:165], v[14:15], v[130:131] op_sel_hi:[1,0]
	v_pk_add_f32 v[36:37], v[14:15], v[130:131] op_sel_hi:[1,0] neg_lo:[0,1] neg_hi:[0,1]
	v_mov_b32_e32 v130, v19
	;; [unrolled: 3-line block ×6, first 2 shown]
	v_accvgpr_write_b32 a45, v1
	v_pk_add_f32 v[174:175], v[50:51], v[130:131] op_sel_hi:[1,0]
	v_pk_add_f32 v[62:63], v[50:51], v[130:131] op_sel_hi:[1,0] neg_lo:[0,1] neg_hi:[0,1]
	v_mov_b32_e32 v130, v61
	v_accvgpr_write_b32 a44, v0
	v_pk_add_f32 v[176:177], v[60:61], v[130:131] op_sel_hi:[1,0]
	v_pk_add_f32 v[0:1], v[60:61], v[130:131] op_sel_hi:[1,0] neg_lo:[0,1] neg_hi:[0,1]
	v_mov_b32_e32 v130, v67
	v_pk_add_f32 v[178:179], v[66:67], v[130:131] op_sel_hi:[1,0]
	v_pk_add_f32 v[50:51], v[66:67], v[130:131] op_sel_hi:[1,0] neg_lo:[0,1] neg_hi:[0,1]
	v_mov_b32_e32 v130, v77
	;; [unrolled: 3-line block ×11, first 2 shown]
	v_pk_add_f32 v[4:5], v[12:13], v[130:131] op_sel_hi:[1,0] neg_lo:[0,1] neg_hi:[0,1]
	v_pk_add_f32 v[198:199], v[12:13], v[130:131] op_sel_hi:[1,0]
	v_accvgpr_write_b32 a75, v5
	v_mov_b32_e32 v130, v17
	v_accvgpr_write_b32 a74, v4
	v_pk_add_f32 v[200:201], v[16:17], v[130:131] op_sel_hi:[1,0]
	v_pk_add_f32 v[4:5], v[16:17], v[130:131] op_sel_hi:[1,0] neg_lo:[0,1] neg_hi:[0,1]
	v_mov_b32_e32 v130, v27
	v_pk_add_f32 v[202:203], v[26:27], v[130:131] op_sel_hi:[1,0]
	v_pk_add_f32 v[16:17], v[26:27], v[130:131] op_sel_hi:[1,0] neg_lo:[0,1] neg_hi:[0,1]
	v_mov_b32_e32 v130, v33
	;; [unrolled: 3-line block ×9, first 2 shown]
	v_accvgpr_write_b32 a77, v5
	v_pk_add_f32 v[218:219], v[88:89], v[130:131] op_sel_hi:[1,0]
	v_pk_add_f32 v[108:109], v[88:89], v[130:131] op_sel_hi:[1,0] neg_lo:[0,1] neg_hi:[0,1]
	v_mov_b32_e32 v130, v97
	v_accvgpr_write_b32 a76, v4
	v_pk_add_f32 v[4:5], v[96:97], v[130:131] op_sel_hi:[1,0]
	v_pk_add_f32 v[32:33], v[96:97], v[130:131] op_sel_hi:[1,0] neg_lo:[0,1] neg_hi:[0,1]
	v_mov_b32_e32 v130, v105
	v_pk_add_f32 v[26:27], v[104:105], v[130:131] op_sel_hi:[1,0]
	v_pk_add_f32 v[104:105], v[104:105], v[130:131] op_sel_hi:[1,0] neg_lo:[0,1] neg_hi:[0,1]
	v_mov_b32_e32 v130, v117
	;; [unrolled: 3-line block ×18, first 2 shown]
	v_accvgpr_read_b32 v8, a46
	v_pk_add_f32 v[220:221], v[110:111], v[130:131] op_sel_hi:[1,0]
	v_pk_add_f32 v[110:111], v[110:111], v[130:131] op_sel_hi:[1,0] neg_lo:[0,1] neg_hi:[0,1]
	v_mov_b32_e32 v130, v107
	v_accvgpr_read_b32 v9, a47
	v_pk_add_f32 v[246:247], v[106:107], v[130:131] op_sel_hi:[1,0]
	v_pk_add_f32 v[106:107], v[106:107], v[130:131] op_sel_hi:[1,0] neg_lo:[0,1] neg_hi:[0,1]
	v_pk_add_f32 v[130:131], v[164:165], v[8:9]
	v_pk_add_f32 v[8:9], v[8:9], v[164:165] neg_lo:[0,1] neg_hi:[0,1]
	v_accvgpr_write_b32 a47, v9
	v_accvgpr_write_b32 a46, v8
	v_accvgpr_read_b32 v8, a48
	v_accvgpr_read_b32 v9, a49
	v_pk_add_f32 v[164:165], v[166:167], v[8:9]
	v_pk_add_f32 v[8:9], v[8:9], v[166:167] neg_lo:[0,1] neg_hi:[0,1]
	v_accvgpr_write_b32 a49, v9
	v_accvgpr_write_b32 a48, v8
	v_accvgpr_read_b32 v8, a50
	v_accvgpr_read_b32 v9, a51
	;; [unrolled: 6-line block ×4, first 2 shown]
	v_pk_add_f32 v[170:171], v[172:173], v[140:141]
	v_pk_add_f32 v[140:141], v[140:141], v[172:173] neg_lo:[0,1] neg_hi:[0,1]
	v_pk_add_f32 v[172:173], v[174:175], v[142:143]
	v_pk_add_f32 v[142:143], v[142:143], v[174:175] neg_lo:[0,1] neg_hi:[0,1]
	v_pk_add_f32 v[174:175], v[176:177], v[144:145]
	v_pk_add_f32 v[144:145], v[144:145], v[176:177] neg_lo:[0,1] neg_hi:[0,1]
	v_pk_add_f32 v[176:177], v[178:179], v[146:147]
	v_pk_add_f32 v[146:147], v[146:147], v[178:179] neg_lo:[0,1] neg_hi:[0,1]
	v_pk_add_f32 v[178:179], v[180:181], v[148:149]
	v_pk_add_f32 v[148:149], v[148:149], v[180:181] neg_lo:[0,1] neg_hi:[0,1]
	v_pk_add_f32 v[180:181], v[182:183], v[150:151]
	v_pk_add_f32 v[150:151], v[150:151], v[182:183] neg_lo:[0,1] neg_hi:[0,1]
	v_pk_add_f32 v[182:183], v[184:185], v[152:153]
	v_pk_add_f32 v[184:185], v[152:153], v[184:185] neg_lo:[0,1] neg_hi:[0,1]
	v_pk_add_f32 v[152:153], v[186:187], v[154:155]
	v_pk_add_f32 v[154:155], v[154:155], v[186:187] neg_lo:[0,1] neg_hi:[0,1]
	v_pk_add_f32 v[186:187], v[188:189], v[156:157]
	v_pk_add_f32 v[156:157], v[156:157], v[188:189] neg_lo:[0,1] neg_hi:[0,1]
	v_pk_add_f32 v[188:189], v[190:191], v[158:159]
	v_pk_add_f32 v[158:159], v[158:159], v[190:191] neg_lo:[0,1] neg_hi:[0,1]
	v_pk_add_f32 v[190:191], v[192:193], v[160:161]
	v_pk_add_f32 v[192:193], v[160:161], v[192:193] neg_lo:[0,1] neg_hi:[0,1]
	v_pk_add_f32 v[160:161], v[194:195], v[162:163]
	v_pk_add_f32 v[162:163], v[162:163], v[194:195] neg_lo:[0,1] neg_hi:[0,1]
	v_pk_add_f32 v[194:195], v[8:9], v[36:37]
	v_pk_add_f32 v[8:9], v[8:9], v[36:37] neg_lo:[0,1] neg_hi:[0,1]
	v_accvgpr_write_b32 a55, v9
	v_accvgpr_write_b32 a54, v8
	v_accvgpr_read_b32 v8, a20
	v_accvgpr_read_b32 v9, a21
	v_pk_add_f32 v[64:65], v[8:9], v[52:53]
	v_pk_add_f32 v[8:9], v[8:9], v[52:53] neg_lo:[0,1] neg_hi:[0,1]
	v_accvgpr_write_b32 a57, v9
	v_accvgpr_write_b32 a56, v8
	v_accvgpr_read_b32 v8, a22
	v_accvgpr_read_b32 v9, a23
	v_pk_add_f32 v[68:69], v[8:9], v[14:15]
	v_pk_add_f32 v[8:9], v[8:9], v[14:15] neg_lo:[0,1] neg_hi:[0,1]
	;; [unrolled: 6-line block ×6, first 2 shown]
	v_accvgpr_write_b32 a67, v1
	v_accvgpr_write_b32 a66, v0
	v_pk_mov_b32 v[0:1], v[78:79], v[78:79] op_sel:[0,1]
	v_pk_add_f32 v[78:79], v[0:1], v[50:51]
	v_pk_add_f32 v[0:1], v[0:1], v[50:51] neg_lo:[0,1] neg_hi:[0,1]
	v_accvgpr_write_b32 a69, v1
	v_accvgpr_write_b32 a68, v0
	v_pk_add_f32 v[0:1], v[84:85], v[34:35] neg_lo:[0,1] neg_hi:[0,1]
	v_accvgpr_write_b32 a71, v1
	v_accvgpr_write_b32 a70, v0
	v_accvgpr_read_b32 v0, a32
	v_accvgpr_read_b32 v1, a33
	v_pk_add_f32 v[82:83], v[0:1], v[60:61]
	v_pk_add_f32 v[0:1], v[0:1], v[60:61] neg_lo:[0,1] neg_hi:[0,1]
	v_accvgpr_write_b32 a73, v1
	v_accvgpr_write_b32 a72, v0
	v_accvgpr_read_b32 v0, a34
	v_accvgpr_read_b32 v1, a35
	v_pk_add_f32 v[80:81], v[84:85], v[34:35]
	v_pk_add_f32 v[84:85], v[0:1], v[92:93]
	v_pk_add_f32 v[0:1], v[0:1], v[92:93] neg_lo:[0,1] neg_hi:[0,1]
	v_accvgpr_write_b32 a35, v1
	v_accvgpr_write_b32 a34, v0
	v_accvgpr_read_b32 v0, a36
	v_accvgpr_read_b32 v1, a37
	v_pk_add_f32 v[86:87], v[0:1], v[98:99]
	v_pk_add_f32 v[98:99], v[0:1], v[98:99] neg_lo:[0,1] neg_hi:[0,1]
	v_accvgpr_read_b32 v0, a38
	v_accvgpr_read_b32 v1, a39
	v_pk_add_f32 v[88:89], v[0:1], v[102:103]
	v_pk_add_f32 v[102:103], v[0:1], v[102:103] neg_lo:[0,1] neg_hi:[0,1]
	;; [unrolled: 4-line block ×5, first 2 shown]
	v_pk_add_f32 v[0:1], v[228:229], v[196:197]
	v_pk_add_f32 v[196:197], v[196:197], v[228:229] neg_lo:[0,1] neg_hi:[0,1]
	v_pk_add_f32 v[228:229], v[230:231], v[198:199]
	v_pk_add_f32 v[230:231], v[198:199], v[230:231] neg_lo:[0,1] neg_hi:[0,1]
	;; [unrolled: 2-line block ×11, first 2 shown]
	v_accvgpr_read_b32 v12, a74
	v_accvgpr_read_b32 v14, a76
	v_pk_add_f32 v[250:251], v[252:253], v[218:219]
	v_accvgpr_read_b32 v13, a75
	v_accvgpr_read_b32 v15, a77
	v_pk_add_f32 v[38:39], v[218:219], v[252:253] neg_lo:[0,1] neg_hi:[0,1]
	v_pk_add_f32 v[218:219], v[254:255], v[4:5]
	v_pk_add_f32 v[42:43], v[4:5], v[254:255] neg_lo:[0,1] neg_hi:[0,1]
	v_pk_add_f32 v[4:5], v[242:243], v[26:27]
	;; [unrolled: 2-line block ×15, first 2 shown]
	v_accvgpr_write_b32 a32, v2
	v_pk_add_f32 v[2:3], v[218:219], v[186:187]
	v_accvgpr_write_b32 a30, v2
	v_pk_add_f32 v[2:3], v[4:5], v[188:189]
	v_accvgpr_write_b32 a28, v2
	v_pk_add_f32 v[2:3], v[188:189], v[4:5] neg_lo:[0,1] neg_hi:[0,1]
	v_pk_add_f32 v[6:7], v[246:247], v[226:227]
	v_accvgpr_write_b32 a26, v2
	v_pk_add_f32 v[2:3], v[242:243], v[190:191]
	v_pk_add_f32 v[34:35], v[122:123], v[106:107]
	v_accvgpr_write_b32 a24, v2
	v_pk_add_f32 v[2:3], v[6:7], v[160:161]
	v_accvgpr_write_b32 a22, v2
	v_pk_add_f32 v[2:3], v[160:161], v[6:7] neg_lo:[0,1] neg_hi:[0,1]
	v_pk_add_f32 v[6:7], v[96:97], v[34:35] neg_lo:[0,1] neg_hi:[0,1]
	v_accvgpr_write_b32 a20, v6
	v_accvgpr_read_b32 v6, a46
	v_pk_add_f32 v[128:129], v[94:95], v[100:101]
	v_pk_add_f32 v[20:21], v[132:133], v[216:217]
	v_pk_add_f32 v[22:23], v[136:137], v[112:113]
	v_accvgpr_read_b32 v7, a47
	v_pk_add_f32 v[254:255], v[226:227], v[246:247] neg_lo:[0,1] neg_hi:[0,1]
	v_pk_add_f32 v[94:95], v[94:95], v[100:101] neg_lo:[0,1] neg_hi:[0,1]
	;; [unrolled: 1-line block ×4, first 2 shown]
	v_pk_add_f32 v[28:29], v[32:33], v[30:31]
	v_pk_add_f32 v[136:137], v[32:33], v[30:31] neg_lo:[0,1] neg_hi:[0,1]
	v_pk_add_f32 v[30:31], v[104:105], v[56:57]
	v_pk_add_f32 v[56:57], v[104:105], v[56:57] neg_lo:[0,1] neg_hi:[0,1]
	;; [unrolled: 2-line block ×3, first 2 shown]
	v_pk_add_f32 v[122:123], v[122:123], v[106:107] neg_lo:[0,1] neg_hi:[0,1]
	v_pk_add_f32 v[138:139], v[0:1], v[130:131]
	v_pk_add_f32 v[130:131], v[130:131], v[0:1] neg_lo:[0,1] neg_hi:[0,1]
	v_pk_add_f32 v[0:1], v[228:229], v[164:165]
	;; [unrolled: 2-line block ×7, first 2 shown]
	v_pk_add_f32 v[200:201], v[178:179], v[210:211] neg_lo:[0,1] neg_hi:[0,1]
	v_pk_add_f32 v[250:251], v[152:153], v[250:251] neg_lo:[0,1] neg_hi:[0,1]
	v_pk_add_f32 v[166:167], v[8:9], v[194:195]
	v_pk_add_f32 v[170:171], v[194:195], v[8:9] neg_lo:[0,1] neg_hi:[0,1]
	v_pk_add_f32 v[194:195], v[16:17], v[72:73]
	;; [unrolled: 2-line block ×8, first 2 shown]
	v_pk_add_f32 v[34:35], v[6:7], v[196:197]
	v_pk_add_f32 v[24:25], v[6:7], v[196:197] neg_lo:[0,1] neg_hi:[0,1]
	v_accvgpr_read_b32 v6, a48
	v_accvgpr_read_b32 v7, a49
	v_pk_add_f32 v[112:113], v[206:207], v[174:175]
	v_pk_add_f32 v[214:215], v[174:175], v[206:207] neg_lo:[0,1] neg_hi:[0,1]
	v_pk_add_f32 v[218:219], v[186:187], v[218:219] neg_lo:[0,1] neg_hi:[0,1]
	v_pk_add_f32 v[174:175], v[10:11], v[64:65]
	v_pk_add_f32 v[178:179], v[64:65], v[10:11] neg_lo:[0,1] neg_hi:[0,1]
	v_pk_add_f32 v[204:205], v[14:15], v[70:71]
	;; [unrolled: 2-line block ×5, first 2 shown]
	v_pk_add_f32 v[30:31], v[6:7], v[230:231] neg_lo:[0,1] neg_hi:[0,1]
	v_accvgpr_read_b32 v6, a50
	v_accvgpr_read_b32 v7, a51
	v_pk_add_f32 v[96:97], v[6:7], v[232:233]
	v_pk_add_f32 v[22:23], v[6:7], v[232:233] neg_lo:[0,1] neg_hi:[0,1]
	v_accvgpr_read_b32 v6, a52
	v_accvgpr_read_b32 v7, a53
	v_pk_add_f32 v[206:207], v[6:7], v[202:203]
	;; [unrolled: 4-line block ×3, first 2 shown]
	v_pk_add_f32 v[228:229], v[182:183], v[248:249] neg_lo:[0,1] neg_hi:[0,1]
	v_pk_add_f32 v[190:191], v[190:191], v[242:243] neg_lo:[0,1] neg_hi:[0,1]
	v_accvgpr_write_b32 a18, v2
	v_pk_add_f32 v[2:3], v[12:13], v[68:69]
	v_pk_add_f32 v[4:5], v[68:69], v[12:13] neg_lo:[0,1] neg_hi:[0,1]
	v_pk_add_f32 v[234:235], v[134:135], v[84:85]
	v_pk_add_f32 v[248:249], v[84:85], v[134:135] neg_lo:[0,1] neg_hi:[0,1]
	;; [unrolled: 2-line block ×13, first 2 shown]
	v_accvgpr_read_b32 v6, a56
	v_accvgpr_read_b32 v7, a57
	v_mbcnt_lo_u32_b32 v1, -1, 0
	v_pk_add_f32 v[142:143], v[146:147], v[244:245]
	v_pk_add_f32 v[134:135], v[146:147], v[244:245] neg_lo:[0,1] neg_hi:[0,1]
	v_pk_add_f32 v[68:69], v[184:185], v[62:63]
	v_pk_add_f32 v[72:73], v[184:185], v[62:63] neg_lo:[0,1] neg_hi:[0,1]
	;; [unrolled: 2-line block ×4, first 2 shown]
	v_accvgpr_read_b32 v6, a58
	v_accvgpr_read_b32 v26, a60
	v_mbcnt_hi_u32_b32 v1, -1, v1
	v_accvgpr_read_b32 v199, a16
	v_accvgpr_read_b32 v7, a59
	;; [unrolled: 1-line block ×3, first 2 shown]
	v_and_b32_e32 v3, 64, v1
	v_and_b32_e32 v5, 1, v199
	v_pk_add_f32 v[140:141], v[162:163], v[254:255]
	v_pk_add_f32 v[150:151], v[162:163], v[254:255] neg_lo:[0,1] neg_hi:[0,1]
	v_pk_add_f32 v[254:255], v[6:7], v[66:67]
	v_pk_add_f32 v[40:41], v[6:7], v[66:67] neg_lo:[0,1] neg_hi:[0,1]
	;; [unrolled: 2-line block ×3, first 2 shown]
	v_accvgpr_read_b32 v26, a62
	v_add_u32_e32 v3, 64, v3
	v_cmp_eq_u32_e64 s[30:31], 0, v5
	v_xor_b32_e32 v5, 1, v1
	v_accvgpr_read_b32 v27, a63
	v_cmp_lt_i32_e64 s[4:5], v5, v3
	v_pk_add_f32 v[184:185], v[26:27], v[58:59]
	v_cndmask_b32_e64 v5, v1, v5, s[4:5]
	v_lshlrev_b32_e32 v185, 2, v5
	ds_bpermute_b32 v5, v185, v138
	v_cndmask_b32_e64 v7, -v138, v138, s[30:31]
	v_pk_add_f32 v[192:193], v[26:27], v[58:59] neg_lo:[0,1] neg_hi:[0,1]
	v_accvgpr_read_b32 v26, a64
	v_accvgpr_read_b32 v27, a65
	s_waitcnt lgkmcnt(0)
	v_add_f32_e32 v197, v7, v5
	ds_bpermute_b32 v5, v185, v166
	v_cndmask_b32_e64 v7, -v166, v166, s[30:31]
	v_pk_add_f32 v[144:145], v[26:27], v[36:37]
	v_pk_add_f32 v[124:125], v[26:27], v[36:37] neg_lo:[0,1] neg_hi:[0,1]
	v_accvgpr_read_b32 v26, a66
	s_waitcnt lgkmcnt(0)
	v_add_f32_e32 v33, v7, v5
	ds_bpermute_b32 v5, v185, v34
	v_cndmask_b32_e64 v7, -v34, v34, s[30:31]
	v_accvgpr_read_b32 v27, a67
	v_pk_add_f32 v[162:163], v[26:27], v[94:95]
	v_pk_add_f32 v[154:155], v[26:27], v[94:95] neg_lo:[0,1] neg_hi:[0,1]
	s_waitcnt lgkmcnt(0)
	v_add_f32_e32 v195, v7, v5
	ds_bpermute_b32 v5, v185, v158
	v_cndmask_b32_e64 v7, -v158, v158, s[30:31]
	v_accvgpr_read_b32 v26, a68
	v_accvgpr_read_b32 v27, a69
	v_pk_add_f32 v[146:147], v[26:27], v[132:133]
	s_waitcnt lgkmcnt(0)
	v_add_f32_e32 v35, v7, v5
	ds_bpermute_b32 v5, v185, v130
	v_cndmask_b32_e64 v7, -v130, v130, s[30:31]
	v_pk_add_f32 v[90:91], v[26:27], v[132:133] neg_lo:[0,1] neg_hi:[0,1]
	v_accvgpr_read_b32 v26, a70
	v_accvgpr_read_b32 v27, a71
	s_waitcnt lgkmcnt(0)
	v_add_f32_e32 v193, v7, v5
	ds_bpermute_b32 v5, v185, v170
	v_pk_add_f32 v[92:93], v[26:27], v[216:217]
	v_pk_add_f32 v[52:53], v[26:27], v[216:217] neg_lo:[0,1] neg_hi:[0,1]
	v_accvgpr_read_b32 v26, a72
	v_accvgpr_read_b32 v27, a73
	v_pk_add_f32 v[36:37], v[26:27], v[44:45] neg_lo:[0,1] neg_hi:[0,1]
	v_cndmask_b32_e64 v7, -v170, v170, s[30:31]
	s_waitcnt lgkmcnt(0)
	v_add_f32_e32 v37, v7, v5
	ds_bpermute_b32 v5, v185, v24
	v_cndmask_b32_e64 v7, -v24, v24, s[30:31]
	v_pk_add_f32 v[28:29], v[26:27], v[44:45]
	v_accvgpr_read_b32 v26, a34
	v_accvgpr_read_b32 v27, a35
	s_waitcnt lgkmcnt(0)
	v_add_f32_e32 v191, v7, v5
	ds_bpermute_b32 v5, v185, v240
	v_cndmask_b32_e64 v7, -v240, v240, s[30:31]
	v_pk_add_f32 v[44:45], v[26:27], v[46:47]
	v_pk_add_f32 v[26:27], v[26:27], v[46:47] neg_lo:[0,1] neg_hi:[0,1]
	v_pk_add_f32 v[46:47], v[126:127], v[122:123]
	s_waitcnt lgkmcnt(0)
	v_add_f32_e32 v39, v7, v5
	ds_bpermute_b32 v5, v185, v0
	v_cndmask_b32_e64 v0, -v0, v0, s[30:31]
	v_pk_add_f32 v[48:49], v[114:115], v[56:57]
	v_pk_add_f32 v[82:83], v[98:99], v[50:51]
	v_pk_add_f32 v[94:95], v[98:99], v[50:51] neg_lo:[0,1] neg_hi:[0,1]
	s_waitcnt lgkmcnt(0)
	v_add_f32_e32 v189, v0, v5
	ds_bpermute_b32 v0, v185, v174
	v_cndmask_b32_e64 v5, -v174, v174, s[30:31]
	v_pk_add_f32 v[50:51], v[120:121], v[60:61] neg_lo:[0,1] neg_hi:[0,1]
	v_pk_add_f32 v[98:99], v[114:115], v[56:57] neg_lo:[0,1] neg_hi:[0,1]
	v_pk_add_f32 v[56:57], v[120:121], v[60:61]
	s_waitcnt lgkmcnt(0)
	v_add_f32_e32 v41, v5, v0
	ds_bpermute_b32 v0, v185, v32
	v_cndmask_b32_e64 v5, -v32, v32, s[30:31]
	v_pk_add_f32 v[58:59], v[102:103], v[136:137] neg_lo:[0,1] neg_hi:[0,1]
	v_pk_add_f32 v[60:61], v[126:127], v[122:123] neg_lo:[0,1] neg_hi:[0,1]
	v_pk_add_f32 v[66:67], v[102:103], v[136:137]
	s_waitcnt lgkmcnt(0)
	v_add_f32_e32 v187, v5, v0
	ds_bpermute_b32 v0, v185, v244
	v_cndmask_b32_e64 v5, -v244, v244, s[30:31]
	v_cndmask_b32_e64 v32, -v60, v60, s[30:31]
	s_waitcnt lgkmcnt(0)
	s_barrier
	v_add_f32_e32 v43, v5, v0
	ds_bpermute_b32 v0, v185, v100
	v_cndmask_b32_e64 v5, -v100, v100, s[30:31]
	s_waitcnt lgkmcnt(0)
	s_mov_b32 s45, s44
	v_add_f32_e32 v183, v5, v0
	ds_bpermute_b32 v0, v185, v178
	v_cndmask_b32_e64 v5, -v178, v178, s[30:31]
	s_waitcnt lgkmcnt(0)
	v_add_f32_e32 v45, v5, v0
	ds_bpermute_b32 v0, v185, v30
	v_cndmask_b32_e64 v5, -v30, v30, s[30:31]
	s_waitcnt lgkmcnt(0)
	;; [unrolled: 4-line block ×8, first 2 shown]
	v_add_f32_e32 v175, v2, v0
	ds_bpermute_b32 v0, v185, v4
	v_cndmask_b32_e64 v2, -v4, v4, s[30:31]
	v_cndmask_b32_e64 v4, -v10, v10, s[30:31]
	s_waitcnt lgkmcnt(0)
	v_add_f32_e32 v53, v2, v0
	ds_bpermute_b32 v0, v185, v22
	v_cndmask_b32_e64 v2, -v22, v22, s[30:31]
	s_waitcnt lgkmcnt(0)
	v_add_f32_e32 v173, v2, v0
	ds_bpermute_b32 v0, v185, v40
	;; [unrolled: 4-line block ×6, first 2 shown]
	v_cndmask_b32_e64 v2, -v6, v6, s[30:31]
	v_accvgpr_read_b32 v6, a20
	s_waitcnt lgkmcnt(0)
	v_add_f32_e32 v59, v2, v0
	ds_bpermute_b32 v0, v185, v198
	v_cndmask_b32_e64 v2, -v198, v198, s[30:31]
	s_waitcnt lgkmcnt(0)
	v_add_f32_e32 v167, v2, v0
	ds_bpermute_b32 v0, v185, v186
	v_cndmask_b32_e64 v2, -v186, v186, s[30:31]
	;; [unrolled: 4-line block ×60, first 2 shown]
	s_waitcnt lgkmcnt(0)
	v_add_f32_e32 v119, v2, v0
	v_accvgpr_read_b32 v2, a32
	ds_bpermute_b32 v0, v185, v2
	v_cndmask_b32_e64 v2, -v2, v2, s[30:31]
	s_waitcnt lgkmcnt(0)
	v_add_f32_e32 v120, v2, v0
	ds_bpermute_b32 v0, v185, v84
	v_cndmask_b32_e64 v2, -v84, v84, s[30:31]
	s_waitcnt lgkmcnt(0)
	v_add_f32_e32 v121, v2, v0
	;; [unrolled: 4-line block ×5, first 2 shown]
	ds_bpermute_b32 v0, v185, v8
	v_cndmask_b32_e64 v2, -v8, v8, s[30:31]
	v_cndmask_b32_e64 v8, -v150, v150, s[30:31]
	s_waitcnt lgkmcnt(0)
	v_add_f32_e32 v125, v2, v0
	ds_bpermute_b32 v0, v185, v212
	v_cndmask_b32_e64 v2, -v212, v212, s[30:31]
	s_waitcnt lgkmcnt(0)
	v_add_f32_e32 v126, v2, v0
	ds_bpermute_b32 v0, v185, v94
	v_cndmask_b32_e64 v2, -v94, v94, s[30:31]
	s_waitcnt lgkmcnt(0)
	v_add_f32_e32 v127, v2, v0
	v_accvgpr_read_b32 v2, a30
	ds_bpermute_b32 v0, v185, v2
	v_cndmask_b32_e64 v2, -v2, v2, s[30:31]
	s_waitcnt lgkmcnt(0)
	v_add_f32_e32 v128, v2, v0
	ds_bpermute_b32 v0, v185, v242
	v_cndmask_b32_e64 v2, -v242, v242, s[30:31]
	s_waitcnt lgkmcnt(0)
	v_add_f32_e32 v129, v2, v0
	;; [unrolled: 4-line block ×5, first 2 shown]
	ds_bpermute_b32 v2, v185, v10
	s_waitcnt lgkmcnt(0)
	v_add_f32_e32 v9, v4, v2
	ds_bpermute_b32 v2, v185, v54
	v_cndmask_b32_e64 v4, -v54, v54, s[30:31]
	s_waitcnt lgkmcnt(0)
	v_add_f32_e32 v11, v4, v2
	ds_bpermute_b32 v2, v185, v58
	v_cndmask_b32_e64 v4, -v58, v58, s[30:31]
	s_waitcnt lgkmcnt(0)
	v_add_f32_e32 v13, v4, v2
	v_accvgpr_read_b32 v4, a28
	ds_bpermute_b32 v2, v185, v4
	v_cndmask_b32_e64 v4, -v4, v4, s[30:31]
	s_waitcnt lgkmcnt(0)
	v_add_f32_e32 v15, v4, v2
	ds_bpermute_b32 v2, v185, v64
	v_cndmask_b32_e64 v4, -v64, v64, s[30:31]
	s_waitcnt lgkmcnt(0)
	v_add_f32_e32 v17, v4, v2
	ds_bpermute_b32 v2, v185, v156
	v_cndmask_b32_e64 v4, -v156, v156, s[30:31]
	s_waitcnt lgkmcnt(0)
	v_add_f32_e32 v19, v4, v2
	ds_bpermute_b32 v2, v185, v48
	v_cndmask_b32_e64 v4, -v48, v48, s[30:31]
	s_waitcnt lgkmcnt(0)
	v_add_f32_e32 v21, v4, v2
	v_accvgpr_read_b32 v4, a26
	ds_bpermute_b32 v2, v185, v4
	v_cndmask_b32_e64 v4, -v4, v4, s[30:31]
	s_waitcnt lgkmcnt(0)
	v_add_f32_e32 v23, v4, v2
	ds_bpermute_b32 v2, v185, v70
	v_cndmask_b32_e64 v4, -v70, v70, s[30:31]
	;; [unrolled: 17-line block ×3, first 2 shown]
	s_waitcnt lgkmcnt(0)
	v_add_f32_e32 v28, v4, v2
	ds_bpermute_b32 v2, v185, v42
	v_cndmask_b32_e64 v4, -v42, v42, s[30:31]
	s_waitcnt lgkmcnt(0)
	v_add_f32_e32 v30, v4, v2
	ds_bpermute_b32 v2, v185, v56
	v_cndmask_b32_e64 v4, -v56, v56, s[30:31]
	;; [unrolled: 4-line block ×6, first 2 shown]
	s_waitcnt lgkmcnt(0)
	v_add_f32_e32 v24, v4, v2
	v_accvgpr_read_b32 v4, a22
	ds_bpermute_b32 v2, v185, v4
	v_cndmask_b32_e64 v4, -v4, v4, s[30:31]
	s_waitcnt lgkmcnt(0)
	v_add_f32_e32 v10, v4, v2
	ds_bpermute_b32 v2, v185, v80
	v_cndmask_b32_e64 v4, -v80, v80, s[30:31]
	s_waitcnt lgkmcnt(0)
	v_add_f32_e32 v12, v4, v2
	;; [unrolled: 4-line block ×4, first 2 shown]
	v_accvgpr_read_b32 v4, a18
	ds_bpermute_b32 v2, v185, v4
	v_cndmask_b32_e64 v4, -v4, v4, s[30:31]
	s_waitcnt lgkmcnt(0)
	v_add_f32_e32 v2, v4, v2
	ds_bpermute_b32 v4, v185, v6
	v_cndmask_b32_e64 v6, -v6, v6, s[30:31]
	s_waitcnt lgkmcnt(0)
	v_add_f32_e32 v4, v6, v4
	ds_bpermute_b32 v6, v185, v150
	s_waitcnt lgkmcnt(0)
	v_add_f32_e32 v6, v8, v6
	ds_bpermute_b32 v8, v185, v60
	s_waitcnt lgkmcnt(0)
	v_add_f32_e32 v8, v32, v8
	v_and_b32_e32 v32, 2, v199
	v_cmp_eq_u32_e64 s[34:35], 0, v32
	v_xor_b32_e32 v32, 2, v1
	v_cmp_lt_i32_e64 s[4:5], v32, v3
	v_cndmask_b32_e64 v32, v1, v32, s[4:5]
	v_lshlrev_b32_e32 v184, 2, v32
	ds_bpermute_b32 v32, v184, v197
	v_cndmask_b32_e64 v34, -v197, v197, s[34:35]
	v_cndmask_b32_e64 v36, -v195, v195, s[34:35]
	v_cndmask_b32_e64 v38, -v193, v193, s[34:35]
	v_cndmask_b32_e64 v40, -v191, v191, s[34:35]
	s_waitcnt lgkmcnt(0)
	v_add_f32_e32 v32, v34, v32
	ds_bpermute_b32 v34, v184, v33
	v_cndmask_b32_e64 v33, -v33, v33, s[34:35]
	v_cndmask_b32_e64 v42, -v189, v189, s[34:35]
	v_cndmask_b32_e64 v44, -v187, v187, s[34:35]
	v_cndmask_b32_e64 v46, -v183, v183, s[34:35]
	s_waitcnt lgkmcnt(0)
	v_add_f32_e32 v33, v33, v34
	;; [unrolled: 7-line block ×10, first 2 shown]
	ds_bpermute_b32 v42, v184, v187
	v_cndmask_b32_e64 v102, -v132, v132, s[34:35]
	v_cndmask_b32_e64 v106, -v131, v131, s[34:35]
	s_waitcnt lgkmcnt(0)
	v_add_f32_e32 v42, v44, v42
	ds_bpermute_b32 v44, v184, v43
	v_cndmask_b32_e64 v43, -v43, v43, s[34:35]
	s_waitcnt lgkmcnt(0)
	v_add_f32_e32 v43, v43, v44
	ds_bpermute_b32 v44, v184, v183
	s_waitcnt lgkmcnt(0)
	v_add_f32_e32 v44, v46, v44
	ds_bpermute_b32 v46, v184, v45
	v_cndmask_b32_e64 v45, -v45, v45, s[34:35]
	s_waitcnt lgkmcnt(0)
	v_add_f32_e32 v45, v45, v46
	ds_bpermute_b32 v46, v184, v181
	;; [unrolled: 7-line block ×31, first 2 shown]
	v_cndmask_b32_e64 v104, -v104, v104, s[34:35]
	s_waitcnt lgkmcnt(0)
	v_add_f32_e32 v104, v104, v7
	ds_bpermute_b32 v7, v184, v105
	v_cndmask_b32_e64 v105, -v105, v105, s[34:35]
	s_waitcnt lgkmcnt(0)
	v_add_f32_e32 v105, v105, v7
	ds_bpermute_b32 v7, v184, v131
	s_waitcnt lgkmcnt(0)
	v_add_f32_e32 v106, v106, v7
	ds_bpermute_b32 v7, v184, v107
	v_cndmask_b32_e64 v107, -v107, v107, s[34:35]
	s_waitcnt lgkmcnt(0)
	v_add_f32_e32 v107, v107, v7
	ds_bpermute_b32 v7, v184, v108
	v_cndmask_b32_e64 v108, -v108, v108, s[34:35]
	;; [unrolled: 4-line block ×53, first 2 shown]
	s_waitcnt lgkmcnt(0)
	v_add_f32_e32 v8, v8, v0
	v_and_b32_e32 v0, 4, v199
	v_cmp_eq_u32_e64 s[36:37], 0, v0
	v_xor_b32_e32 v0, 4, v1
	v_cmp_lt_i32_e64 s[4:5], v0, v3
	v_cndmask_b32_e64 v0, v1, v0, s[4:5]
	v_lshlrev_b32_e32 v131, 2, v0
	ds_bpermute_b32 v0, v131, v32
	v_cndmask_b32_e64 v32, -v32, v32, s[36:37]
	s_waitcnt lgkmcnt(0)
	v_add_f32_e32 v32, v32, v0
	ds_bpermute_b32 v0, v131, v33
	v_cndmask_b32_e64 v33, -v33, v33, s[36:37]
	s_waitcnt lgkmcnt(0)
	v_add_f32_e32 v33, v33, v0
	;; [unrolled: 4-line block ×128, first 2 shown]
	v_and_b32_e32 v0, 8, v199
	v_cmp_eq_u32_e64 s[36:37], 0, v0
	v_xor_b32_e32 v0, 8, v1
	v_cmp_lt_i32_e64 s[4:5], v0, v3
	v_cndmask_b32_e64 v0, v1, v0, s[4:5]
	v_lshlrev_b32_e32 v131, 2, v0
	ds_bpermute_b32 v0, v131, v32
	v_cndmask_b32_e64 v32, -v32, v32, s[36:37]
	s_waitcnt lgkmcnt(0)
	v_add_f32_e32 v32, v32, v0
	ds_bpermute_b32 v0, v131, v33
	v_cndmask_b32_e64 v33, -v33, v33, s[36:37]
	s_waitcnt lgkmcnt(0)
	v_add_f32_e32 v33, v33, v0
	;; [unrolled: 4-line block ×128, first 2 shown]
	v_and_b32_e32 v0, 16, v199
	v_cmp_eq_u32_e64 s[36:37], 0, v0
	v_xor_b32_e32 v0, 16, v1
	v_cmp_lt_i32_e64 s[4:5], v0, v3
	v_cndmask_b32_e64 v0, v1, v0, s[4:5]
	v_lshlrev_b32_e32 v136, 2, v0
	ds_bpermute_b32 v0, v136, v32
	v_cndmask_b32_e64 v32, -v32, v32, s[36:37]
	s_waitcnt lgkmcnt(0)
	v_add_f32_e32 v32, v32, v0
	ds_bpermute_b32 v0, v136, v33
	v_cndmask_b32_e64 v33, -v33, v33, s[36:37]
	s_waitcnt lgkmcnt(0)
	v_add_f32_e32 v33, v33, v0
	;; [unrolled: 4-line block ×128, first 2 shown]
	v_and_b32_e32 v0, 32, v199
	v_cmp_eq_u32_e64 s[36:37], 0, v0
	v_xor_b32_e32 v0, 32, v1
	v_cmp_lt_i32_e64 s[4:5], v0, v3
	v_cndmask_b32_e64 v0, v1, v0, s[4:5]
	v_lshlrev_b32_e32 v1, 2, v0
	ds_bpermute_b32 v0, v1, v32
	v_cndmask_b32_e64 v2, -v32, v32, s[36:37]
	v_cndmask_b32_e64 v3, -v33, v33, s[36:37]
	v_cndmask_b32_e64 v4, -v34, v34, s[36:37]
	v_cndmask_b32_e64 v5, -v35, v35, s[36:37]
	s_waitcnt lgkmcnt(0)
	v_add_f32_e32 v2, v2, v0
	ds_bpermute_b32 v0, v1, v33
	v_cndmask_b32_e64 v6, -v36, v36, s[36:37]
	v_cndmask_b32_e64 v7, -v37, v37, s[36:37]
	v_cndmask_b32_e64 v8, -v38, v38, s[36:37]
	v_cndmask_b32_e64 v9, -v39, v39, s[36:37]
	s_waitcnt lgkmcnt(0)
	v_add_f32_e32 v3, v3, v0
	;; [unrolled: 7-line block ×10, first 2 shown]
	ds_bpermute_b32 v0, v1, v42
	v_cndmask_b32_e64 v42, -v72, v72, s[36:37]
	s_mul_i32 s4, s42, s7
	s_mul_hi_u32 s5, s42, s6
	s_add_i32 s4, s5, s4
	s_waitcnt lgkmcnt(0)
	v_add_f32_e32 v12, v12, v0
	ds_bpermute_b32 v0, v1, v43
	v_cndmask_b32_e64 v43, -v73, v73, s[36:37]
	s_mul_i32 s5, s43, s6
	s_add_i32 s5, s4, s5
	s_mul_i32 s4, s42, s6
	s_waitcnt lgkmcnt(0)
	v_add_f32_e32 v13, v13, v0
	ds_bpermute_b32 v0, v1, v44
	v_cndmask_b32_e64 v44, -v74, v74, s[36:37]
	s_lshl_b64 s[4:5], s[4:5], 1
	s_add_u32 s4, s46, s4
	s_addc_u32 s5, s47, s5
	s_waitcnt lgkmcnt(0)
	v_add_f32_e32 v14, v14, v0
	ds_bpermute_b32 v0, v1, v45
	v_cndmask_b32_e64 v45, -v75, v75, s[36:37]
	s_mov_b32 s6, s44
	s_mov_b32 s7, s44
	s_waitcnt lgkmcnt(0)
	v_add_f32_e32 v15, v15, v0
	ds_bpermute_b32 v0, v1, v46
	v_cndmask_b32_e64 v46, -v76, v76, s[36:37]
	s_waitcnt lgkmcnt(0)
	v_add_f32_e32 v16, v16, v0
	ds_bpermute_b32 v0, v1, v47
	v_cndmask_b32_e64 v47, -v77, v77, s[36:37]
	;; [unrolled: 4-line block ×21, first 2 shown]
	s_waitcnt lgkmcnt(0)
	v_add_f32_e32 v36, v36, v0
	ds_bpermute_b32 v0, v1, v67
	s_waitcnt lgkmcnt(0)
	v_add_f32_e32 v37, v37, v0
	ds_bpermute_b32 v0, v1, v68
	;; [unrolled: 3-line block ×31, first 2 shown]
	v_cndmask_b32_e64 v66, -v97, v97, s[36:37]
	s_waitcnt lgkmcnt(0)
	v_add_f32_e32 v77, v66, v0
	ds_bpermute_b32 v0, v1, v98
	v_cndmask_b32_e64 v66, -v98, v98, s[36:37]
	s_waitcnt lgkmcnt(0)
	v_add_f32_e32 v78, v66, v0
	ds_bpermute_b32 v0, v1, v99
	;; [unrolled: 4-line block ×62, first 2 shown]
	v_cndmask_b32_e64 v1, -v183, v183, s[36:37]
	v_lshrrev_b32_e32 v66, 2, v199
	s_waitcnt lgkmcnt(0)
	v_add_f32_e32 v191, v1, v0
	v_lshrrev_b32_e32 v0, 6, v199
	v_and_b32_e32 v1, 3, v199
	v_xor_b32_e32 v0, v0, v199
	v_lshl_add_u32 v186, v0, 4, 0
	v_lshl_or_b32 v0, v1, 6, v66
	v_xor_b32_e32 v0, v0, v1
	v_lshl_add_u32 v187, v0, 4, 0
	ds_write_b128 v186, v[2:5]
	ds_write_b128 v186, v[6:9] offset:4096
	ds_write_b128 v186, v[10:13] offset:8192
	;; [unrolled: 1-line block ×7, first 2 shown]
	s_waitcnt lgkmcnt(0)
	s_barrier
	ds_read_b128 v[192:195], v187
	ds_read_b128 v[180:183], v187 offset:4096
	ds_read_b128 v[172:175], v187 offset:8192
	;; [unrolled: 1-line block ×7, first 2 shown]
	s_waitcnt lgkmcnt(0)
	s_barrier
	ds_write_b128 v186, v[34:37]
	ds_write_b128 v186, v[38:41] offset:4096
	ds_write_b128 v186, v[42:45] offset:8192
	;; [unrolled: 1-line block ×7, first 2 shown]
	s_waitcnt lgkmcnt(0)
	s_barrier
	ds_read_b128 v[72:75], v187
	ds_read_b128 v[68:71], v187 offset:4096
	ds_read_b128 v[64:67], v187 offset:8192
	;; [unrolled: 1-line block ×7, first 2 shown]
	s_waitcnt lgkmcnt(0)
	s_barrier
	ds_write_b128 v186, v[76:79]
	ds_write_b128 v186, v[80:83] offset:4096
	ds_write_b128 v186, v[84:87] offset:8192
	;; [unrolled: 1-line block ×7, first 2 shown]
	ds_bpermute_b32 v76, v185, v192
	v_cndmask_b32_e64 v77, -v192, v192, s[30:31]
	v_cndmask_b32_e64 v78, -v193, v193, s[30:31]
	v_cndmask_b32_e64 v79, -v194, v194, s[30:31]
	v_cndmask_b32_e64 v80, -v195, v195, s[30:31]
	s_waitcnt lgkmcnt(0)
	v_add_f32_e32 v76, v77, v76
	ds_bpermute_b32 v77, v185, v193
	v_cndmask_b32_e64 v81, -v180, v180, s[30:31]
	v_cndmask_b32_e64 v82, -v181, v181, s[30:31]
	v_cndmask_b32_e64 v83, -v182, v182, s[30:31]
	v_cndmask_b32_e64 v84, -v183, v183, s[30:31]
	s_waitcnt lgkmcnt(0)
	v_add_f32_e32 v77, v78, v77
	;; [unrolled: 7-line block ×5, first 2 shown]
	ds_bpermute_b32 v81, v185, v181
	v_cndmask_b32_e64 v105, -v148, v148, s[30:31]
	v_cndmask_b32_e64 v106, -v149, v149, s[30:31]
	;; [unrolled: 1-line block ×3, first 2 shown]
	s_waitcnt lgkmcnt(0)
	v_add_f32_e32 v81, v82, v81
	ds_bpermute_b32 v82, v185, v182
	s_barrier
	s_waitcnt lgkmcnt(0)
	ds_read_b128 v[60:63], v187
	ds_read_b128 v[56:59], v187 offset:4096
	ds_read_b128 v[52:55], v187 offset:8192
	ds_read_b128 v[48:51], v187 offset:12288
	ds_read_b128 v[44:47], v187 offset:16384
	ds_read_b128 v[40:43], v187 offset:20480
	ds_read_b128 v[36:39], v187 offset:24576
	ds_read_b128 v[32:35], v187 offset:28672
	s_waitcnt lgkmcnt(0)
	v_add_f32_e32 v82, v83, v82
	ds_bpermute_b32 v83, v185, v183
	s_barrier
	s_waitcnt lgkmcnt(0)
	ds_write_b128 v186, v[128:131]
	ds_write_b128 v186, v[136:139] offset:4096
	ds_write_b128 v186, v[144:147] offset:8192
	;; [unrolled: 1-line block ×7, first 2 shown]
	v_cndmask_b32_e64 v128, -v135, v135, s[30:31]
	v_add_f32_e32 v83, v84, v83
	ds_bpermute_b32 v84, v185, v172
	ds_bpermute_b32 v198, v185, v72
	;; [unrolled: 1-line block ×5, first 2 shown]
	s_waitcnt lgkmcnt(4)
	v_add_f32_e32 v84, v85, v84
	ds_bpermute_b32 v85, v185, v173
	v_cndmask_b32_e64 v73, -v73, v73, s[30:31]
	v_cndmask_b32_e64 v72, -v72, v72, s[30:31]
	;; [unrolled: 1-line block ×4, first 2 shown]
	s_waitcnt lgkmcnt(0)
	v_add_f32_e32 v85, v86, v85
	ds_bpermute_b32 v86, v185, v174
	v_pk_add_f32 v[74:75], v[74:75], v[200:201]
	v_pk_add_f32 v[72:73], v[72:73], v[198:199]
	ds_bpermute_b32 v182, v185, v68
	ds_bpermute_b32 v183, v185, v69
	s_waitcnt lgkmcnt(2)
	v_add_f32_e32 v86, v87, v86
	ds_bpermute_b32 v87, v185, v175
	ds_bpermute_b32 v192, v185, v70
	;; [unrolled: 1-line block ×5, first 2 shown]
	s_waitcnt lgkmcnt(4)
	v_add_f32_e32 v87, v88, v87
	ds_bpermute_b32 v88, v185, v164
	v_cndmask_b32_e64 v75, -v75, v75, s[34:35]
	v_cndmask_b32_e64 v74, -v74, v74, s[34:35]
	;; [unrolled: 1-line block ×4, first 2 shown]
	s_waitcnt lgkmcnt(0)
	v_add_f32_e32 v88, v89, v88
	ds_bpermute_b32 v89, v185, v165
	v_cndmask_b32_e64 v71, -v71, v71, s[30:31]
	v_cndmask_b32_e64 v70, -v70, v70, s[30:31]
	v_pk_add_f32 v[74:75], v[74:75], v[198:199]
	v_pk_add_f32 v[70:71], v[70:71], v[192:193]
	s_waitcnt lgkmcnt(0)
	v_add_f32_e32 v89, v90, v89
	ds_bpermute_b32 v90, v185, v166
	v_pk_add_f32 v[68:69], v[68:69], v[182:183]
	s_waitcnt lgkmcnt(0)
	s_barrier
	v_add_f32_e32 v90, v91, v90
	ds_bpermute_b32 v91, v185, v167
	ds_read_b128 v[28:31], v187
	ds_read_b128 v[24:27], v187 offset:4096
	ds_read_b128 v[20:23], v187 offset:8192
	;; [unrolled: 1-line block ×7, first 2 shown]
	ds_bpermute_b32 v172, v185, v64
	ds_bpermute_b32 v173, v185, v65
	;; [unrolled: 1-line block ×3, first 2 shown]
	s_waitcnt lgkmcnt(11)
	v_add_f32_e32 v91, v96, v91
	ds_bpermute_b32 v96, v185, v156
	ds_bpermute_b32 v175, v185, v67
	;; [unrolled: 1-line block ×5, first 2 shown]
	s_waitcnt lgkmcnt(4)
	v_add_f32_e32 v96, v97, v96
	ds_bpermute_b32 v97, v185, v157
	ds_bpermute_b32 v209, v185, v63
	s_waitcnt lgkmcnt(0)
	s_barrier
	v_add_f32_e32 v97, v98, v97
	ds_bpermute_b32 v98, v185, v158
	v_cndmask_b32_e64 v65, -v65, v65, s[30:31]
	v_cndmask_b32_e64 v64, -v64, v64, s[30:31]
	;; [unrolled: 1-line block ×4, first 2 shown]
	s_waitcnt lgkmcnt(0)
	v_add_f32_e32 v98, v99, v98
	ds_bpermute_b32 v99, v185, v159
	v_cndmask_b32_e64 v61, -v61, v61, s[30:31]
	v_cndmask_b32_e64 v60, -v60, v60, s[30:31]
	;; [unrolled: 1-line block ×4, first 2 shown]
	s_waitcnt lgkmcnt(0)
	v_add_f32_e32 v99, v104, v99
	ds_bpermute_b32 v104, v185, v148
	v_pk_add_f32 v[66:67], v[66:67], v[174:175]
	v_pk_add_f32 v[64:65], v[64:65], v[172:173]
	;; [unrolled: 1-line block ×4, first 2 shown]
	s_waitcnt lgkmcnt(0)
	v_add_f32_e32 v104, v105, v104
	ds_bpermute_b32 v105, v185, v149
	ds_bpermute_b32 v202, v185, v56
	;; [unrolled: 1-line block ×5, first 2 shown]
	s_waitcnt lgkmcnt(4)
	v_add_f32_e32 v107, v106, v105
	ds_bpermute_b32 v105, v185, v150
	v_cndmask_b32_e64 v106, -v150, v150, s[30:31]
	ds_bpermute_b32 v172, v184, v60
	ds_bpermute_b32 v173, v184, v61
	ds_bpermute_b32 v174, v184, v62
	s_waitcnt lgkmcnt(3)
	v_add_f32_e32 v112, v106, v105
	ds_bpermute_b32 v105, v185, v151
	v_cndmask_b32_e64 v106, -v151, v151, s[30:31]
	ds_bpermute_b32 v175, v184, v63
	ds_bpermute_b32 v194, v185, v52
	ds_bpermute_b32 v195, v185, v53
	;; [unrolled: 7-line block ×8, first 2 shown]
	s_waitcnt lgkmcnt(3)
	v_add_f32_e32 v105, v106, v105
	ds_bpermute_b32 v106, v185, v134
	ds_bpermute_b32 v160, v185, v32
	;; [unrolled: 1-line block ×5, first 2 shown]
	s_waitcnt lgkmcnt(4)
	v_add_f32_e32 v106, v122, v106
	ds_bpermute_b32 v122, v185, v135
	ds_bpermute_b32 v156, v185, v28
	;; [unrolled: 1-line block ×5, first 2 shown]
	s_waitcnt lgkmcnt(4)
	v_add_f32_e32 v122, v128, v122
	ds_bpermute_b32 v128, v185, v124
	v_cndmask_b32_e64 v124, -v124, v124, s[30:31]
	ds_bpermute_b32 v152, v185, v24
	ds_bpermute_b32 v153, v185, v25
	ds_bpermute_b32 v154, v185, v26
	s_waitcnt lgkmcnt(3)
	v_add_f32_e32 v124, v124, v128
	ds_bpermute_b32 v128, v185, v125
	v_cndmask_b32_e64 v125, -v125, v125, s[30:31]
	ds_bpermute_b32 v155, v185, v27
	ds_bpermute_b32 v148, v185, v20
	ds_bpermute_b32 v149, v185, v21
	;; [unrolled: 7-line block ×9, first 2 shown]
	s_waitcnt lgkmcnt(3)
	v_add_f32_e32 v188, v108, v128
	ds_bpermute_b32 v108, v185, v109
	v_cndmask_b32_e64 v109, -v109, v109, s[30:31]
	ds_bpermute_b32 v128, v185, v0
	v_cndmask_b32_e64 v61, -v61, v61, s[34:35]
	v_cndmask_b32_e64 v60, -v60, v60, s[34:35]
	s_waitcnt lgkmcnt(1)
	v_add_f32_e32 v189, v109, v108
	ds_bpermute_b32 v108, v185, v110
	v_cndmask_b32_e64 v109, -v110, v110, s[30:31]
	v_cndmask_b32_e64 v110, -v125, v125, s[34:35]
	v_cndmask_b32_e64 v63, -v63, v63, s[34:35]
	v_cndmask_b32_e64 v62, -v62, v62, s[34:35]
	s_waitcnt lgkmcnt(0)
	v_add_f32_e32 v210, v109, v108
	ds_bpermute_b32 v108, v185, v111
	v_cndmask_b32_e64 v109, -v111, v111, s[30:31]
	v_cndmask_b32_e64 v111, -v126, v126, s[34:35]
	;; [unrolled: 7-line block ×4, first 2 shown]
	v_pk_add_f32 v[62:63], v[62:63], v[174:175]
	v_pk_add_f32 v[60:61], v[60:61], v[172:173]
	s_waitcnt lgkmcnt(0)
	v_add_f32_e32 v213, v101, v100
	ds_bpermute_b32 v100, v185, v102
	v_cndmask_b32_e64 v101, -v102, v102, s[30:31]
	v_cndmask_b32_e64 v102, -v115, v115, s[34:35]
	v_pk_add_f32 v[58:59], v[58:59], v[204:205]
	v_pk_add_f32 v[56:57], v[56:57], v[202:203]
	s_waitcnt lgkmcnt(0)
	v_add_f32_e32 v214, v101, v100
	ds_bpermute_b32 v100, v185, v103
	v_cndmask_b32_e64 v101, -v103, v103, s[30:31]
	v_cndmask_b32_e64 v103, -v120, v120, s[34:35]
	;; [unrolled: 1-line block ×4, first 2 shown]
	s_waitcnt lgkmcnt(0)
	v_add_f32_e32 v215, v101, v100
	ds_bpermute_b32 v100, v185, v92
	v_cndmask_b32_e64 v92, -v92, v92, s[30:31]
	v_cndmask_b32_e64 v101, -v114, v114, s[34:35]
	;; [unrolled: 1-line block ×4, first 2 shown]
	s_waitcnt lgkmcnt(0)
	v_add_f32_e32 v216, v92, v100
	ds_bpermute_b32 v92, v185, v93
	v_cndmask_b32_e64 v93, -v93, v93, s[30:31]
	v_cndmask_b32_e64 v100, -v113, v113, s[34:35]
	v_pk_add_f32 v[54:55], v[54:55], v[196:197]
	v_pk_add_f32 v[52:53], v[52:53], v[194:195]
	s_waitcnt lgkmcnt(0)
	v_add_f32_e32 v217, v93, v92
	ds_bpermute_b32 v92, v185, v94
	v_cndmask_b32_e64 v93, -v94, v94, s[30:31]
	v_cndmask_b32_e64 v94, -v97, v97, s[34:35]
	;; [unrolled: 1-line block ×4, first 2 shown]
	s_waitcnt lgkmcnt(0)
	v_add_f32_e32 v218, v93, v92
	ds_bpermute_b32 v92, v185, v95
	v_cndmask_b32_e64 v93, -v95, v95, s[30:31]
	v_cndmask_b32_e64 v95, -v98, v98, s[34:35]
	;; [unrolled: 1-line block ×4, first 2 shown]
	s_waitcnt lgkmcnt(0)
	v_add_f32_e32 v219, v93, v92
	ds_bpermute_b32 v92, v184, v76
	v_cndmask_b32_e64 v76, -v76, v76, s[34:35]
	v_cndmask_b32_e64 v93, -v96, v96, s[34:35]
	v_cndmask_b32_e64 v185, -v219, v219, s[34:35]
	v_pk_add_f32 v[50:51], v[50:51], v[190:191]
	s_waitcnt lgkmcnt(0)
	v_add_f32_e32 v76, v76, v92
	ds_bpermute_b32 v92, v184, v77
	v_cndmask_b32_e64 v77, -v77, v77, s[34:35]
	v_pk_add_f32 v[48:49], v[48:49], v[180:181]
	v_cndmask_b32_e64 v45, -v45, v45, s[30:31]
	v_cndmask_b32_e64 v44, -v44, v44, s[30:31]
	s_waitcnt lgkmcnt(0)
	v_add_f32_e32 v77, v77, v92
	ds_bpermute_b32 v92, v184, v78
	v_cndmask_b32_e64 v78, -v78, v78, s[34:35]
	v_cndmask_b32_e64 v47, -v47, v47, s[30:31]
	v_cndmask_b32_e64 v46, -v46, v46, s[30:31]
	v_pk_add_f32 v[46:47], v[46:47], v[178:179]
	s_waitcnt lgkmcnt(0)
	v_add_f32_e32 v78, v78, v92
	ds_bpermute_b32 v92, v184, v79
	v_cndmask_b32_e64 v79, -v79, v79, s[34:35]
	v_pk_add_f32 v[44:45], v[44:45], v[176:177]
	v_cndmask_b32_e64 v41, -v41, v41, s[30:31]
	v_cndmask_b32_e64 v40, -v40, v40, s[30:31]
	s_waitcnt lgkmcnt(0)
	v_add_f32_e32 v79, v79, v92
	ds_bpermute_b32 v92, v184, v80
	v_cndmask_b32_e64 v80, -v80, v80, s[34:35]
	v_cndmask_b32_e64 v43, -v43, v43, s[30:31]
	v_cndmask_b32_e64 v42, -v42, v42, s[30:31]
	v_pk_add_f32 v[42:43], v[42:43], v[170:171]
	s_waitcnt lgkmcnt(0)
	v_add_f32_e32 v80, v80, v92
	ds_bpermute_b32 v92, v184, v81
	v_cndmask_b32_e64 v81, -v81, v81, s[34:35]
	v_pk_add_f32 v[40:41], v[40:41], v[168:169]
	v_cndmask_b32_e64 v37, -v37, v37, s[30:31]
	v_cndmask_b32_e64 v36, -v36, v36, s[30:31]
	s_waitcnt lgkmcnt(0)
	v_add_f32_e32 v81, v81, v92
	ds_bpermute_b32 v92, v184, v82
	v_cndmask_b32_e64 v82, -v82, v82, s[34:35]
	v_cndmask_b32_e64 v39, -v39, v39, s[30:31]
	v_cndmask_b32_e64 v38, -v38, v38, s[30:31]
	v_pk_add_f32 v[38:39], v[38:39], v[166:167]
	s_waitcnt lgkmcnt(0)
	v_add_f32_e32 v82, v82, v92
	ds_bpermute_b32 v92, v184, v83
	v_cndmask_b32_e64 v83, -v83, v83, s[34:35]
	v_pk_add_f32 v[36:37], v[36:37], v[164:165]
	v_cndmask_b32_e64 v33, -v33, v33, s[30:31]
	v_cndmask_b32_e64 v32, -v32, v32, s[30:31]
	s_waitcnt lgkmcnt(0)
	v_add_f32_e32 v83, v83, v92
	ds_bpermute_b32 v92, v184, v84
	v_cndmask_b32_e64 v84, -v84, v84, s[34:35]
	v_cndmask_b32_e64 v35, -v35, v35, s[30:31]
	v_cndmask_b32_e64 v34, -v34, v34, s[30:31]
	v_cndmask_b32_e64 v29, -v29, v29, s[30:31]
	s_waitcnt lgkmcnt(0)
	v_add_f32_e32 v84, v84, v92
	ds_bpermute_b32 v92, v184, v85
	v_cndmask_b32_e64 v85, -v85, v85, s[34:35]
	v_cndmask_b32_e64 v28, -v28, v28, s[30:31]
	;; [unrolled: 1-line block ×4, first 2 shown]
	s_waitcnt lgkmcnt(0)
	v_add_f32_e32 v85, v85, v92
	ds_bpermute_b32 v92, v184, v86
	v_cndmask_b32_e64 v86, -v86, v86, s[34:35]
	v_pk_add_f32 v[34:35], v[34:35], v[162:163]
	v_pk_add_f32 v[32:33], v[32:33], v[160:161]
	;; [unrolled: 1-line block ×3, first 2 shown]
	s_waitcnt lgkmcnt(0)
	v_add_f32_e32 v86, v86, v92
	ds_bpermute_b32 v92, v184, v87
	v_cndmask_b32_e64 v87, -v87, v87, s[34:35]
	v_pk_add_f32 v[28:29], v[28:29], v[156:157]
	ds_bpermute_b32 v156, v184, v28
	ds_bpermute_b32 v157, v184, v29
	s_waitcnt lgkmcnt(2)
	v_add_f32_e32 v87, v87, v92
	ds_bpermute_b32 v92, v184, v88
	v_cndmask_b32_e64 v88, -v88, v88, s[34:35]
	ds_bpermute_b32 v158, v184, v30
	ds_bpermute_b32 v159, v184, v31
	v_cndmask_b32_e64 v29, -v29, v29, s[34:35]
	s_waitcnt lgkmcnt(2)
	v_add_f32_e32 v88, v88, v92
	ds_bpermute_b32 v92, v184, v89
	v_cndmask_b32_e64 v89, -v89, v89, s[34:35]
	v_cndmask_b32_e64 v28, -v28, v28, s[34:35]
	;; [unrolled: 1-line block ×4, first 2 shown]
	s_waitcnt lgkmcnt(0)
	v_add_f32_e32 v89, v89, v92
	ds_bpermute_b32 v92, v184, v90
	v_cndmask_b32_e64 v90, -v90, v90, s[34:35]
	v_cndmask_b32_e64 v25, -v25, v25, s[30:31]
	;; [unrolled: 1-line block ×4, first 2 shown]
	s_waitcnt lgkmcnt(0)
	v_add_f32_e32 v90, v90, v92
	ds_bpermute_b32 v92, v184, v91
	v_cndmask_b32_e64 v91, -v91, v91, s[34:35]
	v_cndmask_b32_e64 v26, -v26, v26, s[30:31]
	v_pk_add_f32 v[30:31], v[30:31], v[158:159]
	v_pk_add_f32 v[28:29], v[28:29], v[156:157]
	s_waitcnt lgkmcnt(0)
	v_add_f32_e32 v91, v91, v92
	ds_bpermute_b32 v92, v184, v96
	v_cndmask_b32_e64 v96, -v99, v99, s[34:35]
	v_pk_add_f32 v[26:27], v[26:27], v[154:155]
	v_pk_add_f32 v[24:25], v[24:25], v[152:153]
	v_cndmask_b32_e64 v21, -v21, v21, s[30:31]
	s_waitcnt lgkmcnt(0)
	v_add_f32_e32 v92, v93, v92
	ds_bpermute_b32 v93, v184, v97
	v_cndmask_b32_e64 v97, -v104, v104, s[34:35]
	v_cndmask_b32_e64 v20, -v20, v20, s[30:31]
	v_cndmask_b32_e64 v23, -v23, v23, s[30:31]
	v_cndmask_b32_e64 v22, -v22, v22, s[30:31]
	s_waitcnt lgkmcnt(0)
	v_add_f32_e32 v93, v94, v93
	ds_bpermute_b32 v94, v184, v98
	v_cndmask_b32_e64 v98, -v107, v107, s[34:35]
	v_pk_add_f32 v[22:23], v[22:23], v[150:151]
	v_pk_add_f32 v[20:21], v[20:21], v[148:149]
	v_cndmask_b32_e64 v17, -v17, v17, s[30:31]
	s_waitcnt lgkmcnt(0)
	v_add_f32_e32 v94, v95, v94
	ds_bpermute_b32 v95, v184, v99
	v_cndmask_b32_e64 v99, -v112, v112, s[34:35]
	v_cndmask_b32_e64 v16, -v16, v16, s[30:31]
	v_cndmask_b32_e64 v19, -v19, v19, s[30:31]
	v_cndmask_b32_e64 v18, -v18, v18, s[30:31]
	s_waitcnt lgkmcnt(0)
	v_add_f32_e32 v95, v96, v95
	ds_bpermute_b32 v96, v184, v104
	v_cndmask_b32_e64 v104, -v121, v121, s[34:35]
	v_pk_add_f32 v[18:19], v[18:19], v[146:147]
	v_pk_add_f32 v[16:17], v[16:17], v[144:145]
	v_cndmask_b32_e64 v13, -v13, v13, s[30:31]
	s_waitcnt lgkmcnt(0)
	v_add_f32_e32 v96, v97, v96
	ds_bpermute_b32 v97, v184, v107
	v_cndmask_b32_e64 v107, -v123, v123, s[34:35]
	v_cndmask_b32_e64 v12, -v12, v12, s[30:31]
	v_cndmask_b32_e64 v15, -v15, v15, s[30:31]
	v_cndmask_b32_e64 v14, -v14, v14, s[30:31]
	s_waitcnt lgkmcnt(0)
	v_add_f32_e32 v97, v98, v97
	ds_bpermute_b32 v98, v184, v112
	v_cndmask_b32_e64 v112, -v127, v127, s[34:35]
	v_pk_add_f32 v[14:15], v[14:15], v[142:143]
	v_pk_add_f32 v[12:13], v[12:13], v[140:141]
	v_cndmask_b32_e64 v9, -v9, v9, s[30:31]
	s_waitcnt lgkmcnt(0)
	v_add_f32_e32 v98, v99, v98
	ds_bpermute_b32 v99, v184, v113
	v_cndmask_b32_e64 v113, -v116, v116, s[34:35]
	v_cndmask_b32_e64 v8, -v8, v8, s[30:31]
	v_cndmask_b32_e64 v11, -v11, v11, s[30:31]
	v_cndmask_b32_e64 v10, -v10, v10, s[30:31]
	s_waitcnt lgkmcnt(0)
	v_add_f32_e32 v99, v100, v99
	ds_bpermute_b32 v100, v184, v114
	v_cndmask_b32_e64 v114, -v117, v117, s[34:35]
	v_pk_add_f32 v[10:11], v[10:11], v[138:139]
	v_pk_add_f32 v[8:9], v[8:9], v[136:137]
	v_cndmask_b32_e64 v5, -v5, v5, s[30:31]
	s_waitcnt lgkmcnt(0)
	v_add_f32_e32 v100, v101, v100
	ds_bpermute_b32 v101, v184, v115
	v_cndmask_b32_e64 v115, -v118, v118, s[34:35]
	v_cndmask_b32_e64 v4, -v4, v4, s[30:31]
	v_cndmask_b32_e64 v7, -v7, v7, s[30:31]
	v_cndmask_b32_e64 v6, -v6, v6, s[30:31]
	s_waitcnt lgkmcnt(0)
	v_add_f32_e32 v101, v102, v101
	ds_bpermute_b32 v102, v184, v120
	v_cndmask_b32_e64 v120, -v211, v211, s[34:35]
	v_pk_add_f32 v[6:7], v[6:7], v[134:135]
	v_pk_add_f32 v[4:5], v[4:5], v[132:133]
	v_cndmask_b32_e64 v1, -v1, v1, s[30:31]
	s_waitcnt lgkmcnt(0)
	v_add_f32_e32 v102, v103, v102
	ds_bpermute_b32 v103, v184, v121
	v_cndmask_b32_e64 v121, -v212, v212, s[34:35]
	v_cndmask_b32_e64 v0, -v0, v0, s[30:31]
	v_cndmask_b32_e64 v3, -v3, v3, s[30:31]
	v_cndmask_b32_e64 v2, -v2, v2, s[30:31]
	s_waitcnt lgkmcnt(0)
	v_add_f32_e32 v103, v104, v103
	ds_bpermute_b32 v104, v184, v123
	v_cndmask_b32_e64 v123, -v214, v214, s[34:35]
	v_pk_add_f32 v[2:3], v[2:3], v[130:131]
	v_pk_add_f32 v[0:1], v[0:1], v[128:129]
	s_waitcnt lgkmcnt(0)
	v_add_f32_e32 v104, v107, v104
	ds_bpermute_b32 v107, v184, v105
	v_cndmask_b32_e64 v105, -v105, v105, s[34:35]
	s_waitcnt lgkmcnt(0)
	v_add_f32_e32 v105, v105, v107
	ds_bpermute_b32 v107, v184, v106
	v_cndmask_b32_e64 v106, -v106, v106, s[34:35]
	;; [unrolled: 4-line block ×4, first 2 shown]
	ds_write_b128 v187, v[76:79]
	ds_write_b128 v187, v[80:83] offset:4096
	ds_write_b128 v187, v[84:87] offset:8192
	ds_write_b128 v187, v[88:91] offset:12288
	ds_write_b128 v187, v[92:95] offset:16384
	ds_write_b128 v187, v[96:99] offset:20480
	ds_write_b128 v187, v[100:103] offset:24576
	ds_write_b128 v187, v[104:107] offset:28672
	s_waitcnt lgkmcnt(0)
	s_barrier
	v_add_f32_e32 v108, v109, v108
	ds_bpermute_b32 v109, v184, v125
	v_cndmask_b32_e64 v125, -v216, v216, s[34:35]
	s_waitcnt lgkmcnt(0)
	ds_read_b128 v[84:87], v186
	ds_read_b128 v[88:91], v186 offset:8192
	ds_read_b128 v[76:79], v186 offset:16384
	;; [unrolled: 1-line block ×7, first 2 shown]
	v_add_f32_e32 v109, v110, v109
	ds_bpermute_b32 v110, v184, v126
	v_cndmask_b32_e64 v126, -v217, v217, s[34:35]
	s_waitcnt lgkmcnt(0)
	s_barrier
	v_add_f32_e32 v110, v111, v110
	ds_bpermute_b32 v111, v184, v127
	v_cndmask_b32_e64 v127, -v218, v218, s[34:35]
	v_pk_add_f32 v[178:179], v[86:87], v[90:91]
	v_pk_add_f32 v[182:183], v[78:79], v[82:83]
	;; [unrolled: 1-line block ×3, first 2 shown]
	s_waitcnt lgkmcnt(0)
	v_add_f32_e32 v111, v112, v111
	ds_bpermute_b32 v112, v184, v116
	v_cndmask_b32_e64 v116, -v119, v119, s[34:35]
	v_pk_add_f32 v[176:177], v[84:85], v[88:89]
	v_pk_add_f32 v[180:181], v[76:77], v[80:81]
	;; [unrolled: 1-line block ×3, first 2 shown]
	s_waitcnt lgkmcnt(0)
	v_add_f32_e32 v112, v113, v112
	ds_bpermute_b32 v113, v184, v117
	v_cndmask_b32_e64 v117, -v188, v188, s[34:35]
	v_pk_add_f32 v[220:221], v[102:103], v[106:107]
	v_pk_add_f32 v[208:209], v[92:93], v[96:97]
	s_waitcnt lgkmcnt(0)
	v_add_f32_e32 v113, v114, v113
	ds_bpermute_b32 v114, v184, v118
	v_cndmask_b32_e64 v118, -v189, v189, s[34:35]
	s_waitcnt lgkmcnt(0)
	v_add_f32_e32 v114, v115, v114
	ds_bpermute_b32 v115, v184, v119
	v_cndmask_b32_e64 v119, -v210, v210, s[34:35]
	s_waitcnt lgkmcnt(0)
	v_add_f32_e32 v115, v116, v115
	ds_bpermute_b32 v116, v184, v188
	ds_bpermute_b32 v188, v184, v72
	v_cndmask_b32_e64 v72, -v72, v72, s[34:35]
	s_waitcnt lgkmcnt(1)
	v_add_f32_e32 v116, v117, v116
	ds_bpermute_b32 v117, v184, v189
	;; [unrolled: 5-line block ×3, first 2 shown]
	s_waitcnt lgkmcnt(1)
	v_pk_add_f32 v[72:73], v[72:73], v[188:189]
	ds_write_b128 v187, v[72:75]
	ds_bpermute_b32 v72, v184, v68
	ds_bpermute_b32 v73, v184, v69
	s_waitcnt lgkmcnt(3)
	v_add_f32_e32 v118, v119, v118
	ds_bpermute_b32 v119, v184, v211
	ds_bpermute_b32 v74, v184, v70
	;; [unrolled: 1-line block ×3, first 2 shown]
	v_cndmask_b32_e64 v69, -v69, v69, s[34:35]
	v_cndmask_b32_e64 v68, -v68, v68, s[34:35]
	s_waitcnt lgkmcnt(2)
	v_add_f32_e32 v119, v120, v119
	ds_bpermute_b32 v120, v184, v212
	v_cndmask_b32_e64 v71, -v71, v71, s[34:35]
	v_cndmask_b32_e64 v70, -v70, v70, s[34:35]
	s_waitcnt lgkmcnt(1)
	v_pk_add_f32 v[70:71], v[70:71], v[74:75]
	v_pk_add_f32 v[68:69], v[68:69], v[72:73]
	s_waitcnt lgkmcnt(0)
	v_add_f32_e32 v120, v121, v120
	ds_bpermute_b32 v121, v184, v213
	ds_write_b128 v187, v[68:71] offset:4096
	ds_bpermute_b32 v68, v184, v64
	ds_bpermute_b32 v69, v184, v65
	;; [unrolled: 1-line block ×3, first 2 shown]
	s_waitcnt lgkmcnt(4)
	v_add_f32_e32 v121, v122, v121
	ds_bpermute_b32 v122, v184, v214
	ds_bpermute_b32 v71, v184, v67
	v_cndmask_b32_e64 v65, -v65, v65, s[34:35]
	v_cndmask_b32_e64 v64, -v64, v64, s[34:35]
	v_cndmask_b32_e64 v67, -v67, v67, s[34:35]
	s_waitcnt lgkmcnt(1)
	v_add_f32_e32 v122, v123, v122
	ds_bpermute_b32 v123, v184, v215
	v_cndmask_b32_e64 v66, -v66, v66, s[34:35]
	s_waitcnt lgkmcnt(1)
	v_pk_add_f32 v[66:67], v[66:67], v[70:71]
	v_pk_add_f32 v[64:65], v[64:65], v[68:69]
	;; [unrolled: 1-line block ×3, first 2 shown]
	s_waitcnt lgkmcnt(0)
	v_add_f32_e32 v123, v124, v123
	ds_bpermute_b32 v124, v184, v216
	v_pk_add_f32 v[168:169], v[212:213], v[220:221]
	s_waitcnt lgkmcnt(0)
	v_add_f32_e32 v124, v125, v124
	ds_bpermute_b32 v125, v184, v217
	v_pk_add_f32 v[216:217], v[100:101], v[104:105]
	v_pk_add_f32 v[164:165], v[208:209], v[216:217]
	s_waitcnt lgkmcnt(0)
	v_add_f32_e32 v125, v126, v125
	ds_bpermute_b32 v126, v184, v218
	s_waitcnt lgkmcnt(0)
	v_add_f32_e32 v126, v127, v126
	ds_bpermute_b32 v127, v184, v219
	s_waitcnt lgkmcnt(0)
	v_add_f32_e32 v127, v185, v127
	ds_write_b128 v187, v[64:67] offset:8192
	ds_write_b128 v187, v[108:111] offset:12288
	;; [unrolled: 1-line block ×6, first 2 shown]
	s_waitcnt lgkmcnt(0)
	s_barrier
	ds_read_b128 v[68:71], v186
	ds_read_b128 v[64:67], v186 offset:4096
	ds_read_b128 v[120:123], v186 offset:8192
	;; [unrolled: 1-line block ×7, first 2 shown]
	s_waitcnt lgkmcnt(0)
	s_barrier
	ds_write_b128 v187, v[60:63]
	ds_bpermute_b32 v60, v184, v56
	ds_bpermute_b32 v61, v184, v57
	ds_bpermute_b32 v62, v184, v58
	ds_bpermute_b32 v63, v184, v59
	v_cndmask_b32_e64 v57, -v57, v57, s[34:35]
	v_cndmask_b32_e64 v56, -v56, v56, s[34:35]
	v_cndmask_b32_e64 v59, -v59, v59, s[34:35]
	v_cndmask_b32_e64 v58, -v58, v58, s[34:35]
	s_waitcnt lgkmcnt(0)
	v_pk_add_f32 v[58:59], v[58:59], v[62:63]
	v_pk_add_f32 v[56:57], v[56:57], v[60:61]
	ds_write_b128 v187, v[56:59] offset:4096
	ds_bpermute_b32 v56, v184, v52
	ds_bpermute_b32 v57, v184, v53
	ds_bpermute_b32 v58, v184, v54
	ds_bpermute_b32 v59, v184, v55
	v_cndmask_b32_e64 v53, -v53, v53, s[34:35]
	v_cndmask_b32_e64 v52, -v52, v52, s[34:35]
	v_cndmask_b32_e64 v55, -v55, v55, s[34:35]
	v_cndmask_b32_e64 v54, -v54, v54, s[34:35]
	s_waitcnt lgkmcnt(0)
	v_pk_add_f32 v[54:55], v[54:55], v[58:59]
	v_pk_add_f32 v[52:53], v[52:53], v[56:57]
	ds_write_b128 v187, v[52:55] offset:8192
	;; [unrolled: 12-line block ×7, first 2 shown]
	s_waitcnt lgkmcnt(0)
	s_barrier
	ds_read_b128 v[36:39], v186
	ds_read_b128 v[32:35], v186 offset:4096
	ds_read_b128 v[56:59], v186 offset:8192
	;; [unrolled: 1-line block ×7, first 2 shown]
	s_waitcnt lgkmcnt(0)
	s_barrier
	ds_write_b128 v187, v[28:31]
	ds_bpermute_b32 v28, v184, v24
	ds_bpermute_b32 v29, v184, v25
	ds_bpermute_b32 v30, v184, v26
	ds_bpermute_b32 v31, v184, v27
	v_cndmask_b32_e64 v25, -v25, v25, s[34:35]
	v_cndmask_b32_e64 v24, -v24, v24, s[34:35]
	v_cndmask_b32_e64 v27, -v27, v27, s[34:35]
	v_cndmask_b32_e64 v26, -v26, v26, s[34:35]
	s_waitcnt lgkmcnt(0)
	v_pk_add_f32 v[26:27], v[26:27], v[30:31]
	v_pk_add_f32 v[24:25], v[24:25], v[28:29]
	ds_write_b128 v187, v[24:27] offset:4096
	ds_bpermute_b32 v24, v184, v20
	ds_bpermute_b32 v25, v184, v21
	ds_bpermute_b32 v26, v184, v22
	ds_bpermute_b32 v27, v184, v23
	v_cndmask_b32_e64 v21, -v21, v21, s[34:35]
	v_cndmask_b32_e64 v20, -v20, v20, s[34:35]
	v_cndmask_b32_e64 v23, -v23, v23, s[34:35]
	v_cndmask_b32_e64 v22, -v22, v22, s[34:35]
	s_waitcnt lgkmcnt(0)
	v_pk_add_f32 v[22:23], v[22:23], v[26:27]
	v_pk_add_f32 v[20:21], v[20:21], v[24:25]
	ds_write_b128 v187, v[20:23] offset:8192
	;; [unrolled: 12-line block ×7, first 2 shown]
	s_waitcnt lgkmcnt(0)
	s_barrier
	ds_read_b128 v[4:7], v186
	ds_read_b128 v[0:3], v186 offset:4096
	ds_read_b128 v[20:23], v186 offset:8192
	;; [unrolled: 1-line block ×7, first 2 shown]
	v_pk_add_f32 v[192:193], v[70:71], v[122:123]
	v_pk_add_f32 v[196:197], v[110:111], v[126:127]
	;; [unrolled: 1-line block ×7, first 2 shown]
	v_accvgpr_write_b32 a16, v128
	v_pk_add_f32 v[200:201], v[38:39], v[58:59]
	v_pk_add_f32 v[204:205], v[46:47], v[62:63]
	s_waitcnt lgkmcnt(5)
	v_pk_add_f32 v[210:211], v[6:7], v[22:23]
	s_waitcnt lgkmcnt(1)
	v_pk_add_f32 v[218:219], v[14:15], v[30:31]
	v_accvgpr_write_b32 a17, v129
	v_pk_add_f32 v[128:129], v[148:149], v[156:157]
	v_pk_add_f32 v[146:147], v[200:201], v[204:205]
	;; [unrolled: 1-line block ×3, first 2 shown]
	v_accvgpr_write_b32 a18, v128
	v_pk_add_f32 v[198:199], v[36:37], v[56:57]
	v_pk_add_f32 v[202:203], v[44:45], v[60:61]
	;; [unrolled: 1-line block ×4, first 2 shown]
	v_accvgpr_write_b32 a19, v129
	v_pk_add_f32 v[128:129], v[146:147], v[154:155]
	v_pk_add_f32 v[144:145], v[198:199], v[202:203]
	;; [unrolled: 1-line block ×3, first 2 shown]
	v_accvgpr_write_b32 a20, v128
	v_accvgpr_write_b32 a21, v129
	v_pk_add_f32 v[128:129], v[144:145], v[150:151]
	v_pk_add_f32 v[224:225], v[66:67], v[114:115]
	;; [unrolled: 1-line block ×3, first 2 shown]
	v_accvgpr_write_b32 a22, v128
	v_pk_add_f32 v[174:175], v[224:225], v[228:229]
	v_accvgpr_write_b32 a23, v129
	v_pk_add_f32 v[222:223], v[64:65], v[112:113]
	v_pk_add_f32 v[226:227], v[72:73], v[116:117]
	;; [unrolled: 1-line block ×4, first 2 shown]
	v_accvgpr_write_b32 a24, v128
	v_pk_add_f32 v[232:233], v[34:35], v[50:51]
	v_pk_add_f32 v[230:231], v[32:33], v[48:49]
	;; [unrolled: 1-line block ×6, first 2 shown]
	s_waitcnt lgkmcnt(0)
	v_pk_add_f32 v[184:185], v[10:11], v[26:27]
	v_pk_add_f32 v[246:247], v[8:9], v[24:25]
	v_accvgpr_write_b32 a25, v129
	v_pk_add_f32 v[128:129], v[164:165], v[172:173]
	v_pk_add_f32 v[162:163], v[232:233], v[236:237]
	;; [unrolled: 1-line block ×5, first 2 shown]
	v_accvgpr_write_b32 a26, v128
	v_accvgpr_write_b32 a27, v129
	v_pk_add_f32 v[140:141], v[162:163], v[170:171]
	v_pk_add_f32 v[142:143], v[160:161], v[166:167]
	s_and_saveexec_b64 s[30:31], s[28:29]
	s_cbranch_execz .LBB25_34
; %bb.33:
	v_accvgpr_read_b32 v129, a17
	v_accvgpr_read_b32 v131, a21
	;; [unrolled: 1-line block ×4, first 2 shown]
	v_pk_add_f32 v[128:129], v[128:129], v[130:131]
	v_accvgpr_read_b32 v131, a19
	v_accvgpr_read_b32 v133, a23
	;; [unrolled: 1-line block ×4, first 2 shown]
	v_pk_add_f32 v[130:131], v[130:131], v[132:133]
	v_pk_mul_f32 v[128:129], s[6:7], v[128:129]
	v_pk_mul_f32 v[130:131], s[44:45], v[130:131]
	v_cvt_f16_f32_e32 v132, v129
	v_cvt_f16_f32_e32 v133, v128
	;; [unrolled: 1-line block ×4, first 2 shown]
	v_accvgpr_read_b32 v129, a25
	v_accvgpr_read_b32 v131, a27
	v_accvgpr_read_b32 v128, a24
	v_accvgpr_read_b32 v130, a26
	v_pk_add_f32 v[128:129], v[128:129], v[140:141]
	v_pk_add_f32 v[130:131], v[130:131], v[142:143]
	v_pk_mul_f32 v[128:129], s[6:7], v[128:129]
	v_pk_mul_f32 v[130:131], s[44:45], v[130:131]
	v_cvt_f16_f32_e32 v129, v129
	v_cvt_f16_f32_e32 v128, v128
	;; [unrolled: 1-line block ×4, first 2 shown]
	v_pack_b32_f16 v131, v128, v129
	v_pack_b32_f16 v129, v133, v132
	;; [unrolled: 1-line block ×4, first 2 shown]
	v_accvgpr_read_b32 v132, a15
	global_store_dwordx4 v132, v[128:131], s[4:5]
.LBB25_34:
	s_or_b64 exec, exec, s[30:31]
	v_sub_f32_e32 v245, v87, v91
	v_sub_f32_e32 v244, v86, v90
	;; [unrolled: 1-line block ×64, first 2 shown]
	v_pk_add_f32 v[64:65], v[244:245], v[254:255]
	v_pk_add_f32 v[66:67], v[242:243], v[252:253]
	;; [unrolled: 1-line block ×24, first 2 shown]
	s_and_saveexec_b64 s[28:29], s[26:27]
	s_cbranch_execz .LBB25_36
; %bb.35:
	v_pk_add_f32 v[16:17], v[0:1], v[4:5]
	v_pk_mul_f32 v[16:17], s[6:7], v[16:17]
	v_pk_add_f32 v[18:19], v[2:3], v[6:7]
	v_cvt_f16_f32_e32 v22, v17
	v_cvt_f16_f32_e32 v23, v16
	v_pk_add_f32 v[16:17], v[8:9], v[12:13]
	v_pk_add_f32 v[20:21], v[10:11], v[14:15]
	v_pk_mul_f32 v[18:19], s[44:45], v[18:19]
	v_pk_mul_f32 v[16:17], s[6:7], v[16:17]
	;; [unrolled: 1-line block ×3, first 2 shown]
	v_cvt_f16_f32_e32 v24, v19
	v_cvt_f16_f32_e32 v17, v17
	;; [unrolled: 1-line block ×6, first 2 shown]
	v_pack_b32_f16 v19, v16, v17
	v_pack_b32_f16 v17, v23, v22
	;; [unrolled: 1-line block ×4, first 2 shown]
	v_accvgpr_read_b32 v20, a14
	global_store_dwordx4 v20, v[16:19], s[4:5]
.LBB25_36:
	s_or_b64 exec, exec, s[28:29]
	v_sub_f32_e32 v103, v179, v183
	v_sub_f32_e32 v102, v178, v182
	;; [unrolled: 1-line block ×32, first 2 shown]
	v_pk_add_f32 v[16:17], v[102:103], v[110:111]
	v_pk_add_f32 v[18:19], v[100:101], v[108:109]
	;; [unrolled: 1-line block ×8, first 2 shown]
	s_and_saveexec_b64 s[26:27], s[24:25]
	s_cbranch_execz .LBB25_38
; %bb.37:
	v_pk_add_f32 v[180:181], v[16:17], v[20:21]
	v_pk_mul_f32 v[180:181], s[6:7], v[180:181]
	v_pk_add_f32 v[182:183], v[18:19], v[22:23]
	v_cvt_f16_f32_e32 v190, v181
	v_cvt_f16_f32_e32 v191, v180
	v_pk_add_f32 v[180:181], v[24:25], v[28:29]
	v_pk_add_f32 v[184:185], v[26:27], v[30:31]
	v_pk_mul_f32 v[182:183], s[44:45], v[182:183]
	v_pk_mul_f32 v[180:181], s[6:7], v[180:181]
	;; [unrolled: 1-line block ×3, first 2 shown]
	v_cvt_f16_f32_e32 v192, v183
	v_cvt_f16_f32_e32 v181, v181
	;; [unrolled: 1-line block ×6, first 2 shown]
	v_pack_b32_f16 v183, v180, v181
	v_pack_b32_f16 v181, v191, v190
	;; [unrolled: 1-line block ×4, first 2 shown]
	v_accvgpr_read_b32 v184, a13
	global_store_dwordx4 v184, v[180:183], s[4:5]
.LBB25_38:
	s_or_b64 exec, exec, s[26:27]
	v_sub_f32_e32 v193, v245, v255
	v_sub_f32_e32 v192, v244, v254
	;; [unrolled: 1-line block ×32, first 2 shown]
	v_pk_add_f32 v[32:33], v[192:193], v[188:189]
	v_pk_add_f32 v[34:35], v[190:191], v[132:133]
	;; [unrolled: 1-line block ×8, first 2 shown]
	s_and_saveexec_b64 s[24:25], s[22:23]
	s_cbranch_execz .LBB25_40
; %bb.39:
	v_pk_add_f32 v[48:49], v[32:33], v[38:39]
	v_pk_mul_f32 v[48:49], s[6:7], v[48:49]
	v_pk_add_f32 v[50:51], v[34:35], v[42:43]
	v_cvt_f16_f32_e32 v54, v49
	v_cvt_f16_f32_e32 v55, v48
	v_pk_add_f32 v[48:49], v[36:37], v[44:45]
	v_pk_add_f32 v[52:53], v[40:41], v[46:47]
	v_pk_mul_f32 v[50:51], s[44:45], v[50:51]
	v_pk_mul_f32 v[48:49], s[6:7], v[48:49]
	v_pk_mul_f32 v[52:53], s[44:45], v[52:53]
	v_cvt_f16_f32_e32 v56, v51
	v_cvt_f16_f32_e32 v49, v49
	v_cvt_f16_f32_e32 v48, v48
	v_cvt_f16_f32_e32 v53, v53
	v_cvt_f16_f32_e32 v52, v52
	v_cvt_f16_f32_e32 v57, v50
	v_pack_b32_f16 v51, v48, v49
	v_pack_b32_f16 v49, v55, v54
	v_pack_b32_f16 v50, v52, v53
	v_pack_b32_f16 v48, v57, v56
	v_accvgpr_read_b32 v52, a12
	global_store_dwordx4 v52, v[48:51], s[4:5]
.LBB25_40:
	s_or_b64 exec, exec, s[24:25]
	v_sub_f32_e32 v55, v153, v159
	v_sub_f32_e32 v54, v152, v158
	v_sub_f32_e32 v59, v149, v157
	v_sub_f32_e32 v58, v148, v156
	v_sub_f32_e32 v61, v147, v155
	v_sub_f32_e32 v60, v146, v154
	v_sub_f32_e32 v63, v145, v151
	v_sub_f32_e32 v62, v144, v150
	v_sub_f32_e32 v49, v169, v175
	v_sub_f32_e32 v48, v168, v174
	v_sub_f32_e32 v51, v165, v173
	v_sub_f32_e32 v50, v164, v172
	v_sub_f32_e32 v53, v163, v171
	v_sub_f32_e32 v52, v162, v170
	v_sub_f32_e32 v57, v161, v167
	v_sub_f32_e32 v56, v160, v166
	s_and_saveexec_b64 s[22:23], s[20:21]
	s_cbranch_execz .LBB25_42
; %bb.41:
	v_pk_add_f32 v[70:71], v[54:55], v[60:61]
	v_pk_mul_f32 v[70:71], s[6:7], v[70:71]
	v_pk_add_f32 v[74:75], v[58:59], v[62:63]
	v_cvt_f16_f32_e32 v136, v71
	v_cvt_f16_f32_e32 v138, v70
	v_pk_add_f32 v[70:71], v[48:49], v[52:53]
	v_pk_add_f32 v[134:135], v[50:51], v[56:57]
	v_pk_mul_f32 v[74:75], s[44:45], v[74:75]
	v_pk_mul_f32 v[70:71], s[6:7], v[70:71]
	v_pk_mul_f32 v[134:135], s[44:45], v[134:135]
	v_cvt_f16_f32_e32 v75, v75
	v_cvt_f16_f32_e32 v71, v71
	v_cvt_f16_f32_e32 v70, v70
	v_cvt_f16_f32_e32 v139, v135
	v_cvt_f16_f32_e32 v134, v134
	v_cvt_f16_f32_e32 v74, v74
	v_pack_b32_f16 v137, v70, v71
	v_pack_b32_f16 v135, v138, v136
	v_pack_b32_f16 v136, v134, v139
	v_pack_b32_f16 v134, v74, v75
	v_accvgpr_read_b32 v70, a11
	global_store_dwordx4 v70, v[134:137], s[4:5]
.LBB25_42:
	s_or_b64 exec, exec, s[22:23]
	v_sub_f32_e32 v71, v65, v69
	v_sub_f32_e32 v70, v64, v68
	v_sub_f32_e32 v75, v67, v73
	v_sub_f32_e32 v74, v66, v72
	v_sub_f32_e32 v79, v77, v79
	v_sub_f32_e32 v78, v76, v78
	v_sub_f32_e32 v83, v81, v83
	v_sub_f32_e32 v82, v80, v82
	v_sub_f32_e32 v65, v85, v89
	v_sub_f32_e32 v64, v84, v88
	v_sub_f32_e32 v67, v87, v91
	v_sub_f32_e32 v66, v86, v90
	v_sub_f32_e32 v69, v93, v97
	v_sub_f32_e32 v68, v92, v96
	v_sub_f32_e32 v73, v95, v99
	v_sub_f32_e32 v72, v94, v98
	;; [unrolled: 43-line block ×4, first 2 shown]
	s_and_saveexec_b64 s[16:17], s[14:15]
	s_cbranch_execnz .LBB25_56
; %bb.47:
	s_or_b64 exec, exec, s[16:17]
	s_and_saveexec_b64 s[14:15], s[12:13]
	s_cbranch_execnz .LBB25_57
.LBB25_48:
	s_or_b64 exec, exec, s[14:15]
	s_and_saveexec_b64 s[12:13], s[10:11]
	s_cbranch_execnz .LBB25_58
.LBB25_49:
	s_or_b64 exec, exec, s[12:13]
	s_and_saveexec_b64 s[10:11], s[8:9]
	s_cbranch_execnz .LBB25_59
.LBB25_50:
	s_or_b64 exec, exec, s[10:11]
	s_and_saveexec_b64 s[8:9], s[40:41]
	s_cbranch_execnz .LBB25_60
.LBB25_51:
	s_or_b64 exec, exec, s[8:9]
	s_and_saveexec_b64 s[8:9], s[38:39]
	s_cbranch_execnz .LBB25_61
.LBB25_52:
	s_or_b64 exec, exec, s[8:9]
	s_and_saveexec_b64 s[8:9], s[2:3]
	s_cbranch_execnz .LBB25_62
.LBB25_53:
	s_or_b64 exec, exec, s[8:9]
	s_and_saveexec_b64 s[2:3], s[0:1]
	s_cbranch_execnz .LBB25_63
.LBB25_54:
	s_or_b64 exec, exec, s[2:3]
	s_and_saveexec_b64 s[0:1], vcc
	s_cbranch_execnz .LBB25_64
.LBB25_55:
	s_endpgm
.LBB25_56:
	v_pk_add_f32 v[112:113], v[96:97], v[104:105]
	v_pk_mul_f32 v[112:113], s[6:7], v[112:113]
	v_pk_add_f32 v[114:115], v[100:101], v[108:109]
	v_cvt_f16_f32_e32 v118, v113
	v_cvt_f16_f32_e32 v119, v112
	v_pk_add_f32 v[112:113], v[98:99], v[106:107]
	v_pk_add_f32 v[116:117], v[102:103], v[110:111]
	v_pk_mul_f32 v[114:115], s[44:45], v[114:115]
	v_pk_mul_f32 v[112:113], s[6:7], v[112:113]
	;; [unrolled: 1-line block ×3, first 2 shown]
	v_cvt_f16_f32_e32 v120, v115
	v_cvt_f16_f32_e32 v113, v113
	v_cvt_f16_f32_e32 v112, v112
	v_cvt_f16_f32_e32 v117, v117
	v_cvt_f16_f32_e32 v116, v116
	v_cvt_f16_f32_e32 v121, v114
	v_pack_b32_f16 v115, v112, v113
	v_pack_b32_f16 v113, v119, v118
	v_pack_b32_f16 v114, v116, v117
	v_pack_b32_f16 v112, v121, v120
	v_accvgpr_read_b32 v116, a8
	global_store_dwordx4 v116, v[112:115], s[4:5]
	s_or_b64 exec, exec, s[16:17]
	s_and_saveexec_b64 s[14:15], s[12:13]
	s_cbranch_execz .LBB25_48
.LBB25_57:
	v_accvgpr_read_b32 v113, a19
	v_accvgpr_read_b32 v115, a23
	v_accvgpr_read_b32 v112, a18
	v_accvgpr_read_b32 v114, a22
	v_sub_f32_e32 v113, v113, v115
	v_sub_f32_e32 v112, v112, v114
	v_accvgpr_read_b32 v115, a17
	v_accvgpr_read_b32 v117, a21
	v_accvgpr_read_b32 v114, a16
	v_accvgpr_read_b32 v116, a20
	v_sub_f32_e32 v115, v115, v117
	v_sub_f32_e32 v114, v114, v116
	;; [unrolled: 6-line block ×3, first 2 shown]
	v_sub_f32_e32 v119, v119, v141
	v_sub_f32_e32 v118, v118, v140
	v_pk_mul_f32 v[114:115], s[6:7], v[114:115]
	v_pk_mul_f32 v[112:113], s[44:45], v[112:113]
	;; [unrolled: 1-line block ×4, first 2 shown]
	v_cvt_f16_f32_e32 v120, v113
	v_cvt_f16_f32_e32 v113, v115
	;; [unrolled: 1-line block ×8, first 2 shown]
	v_pack_b32_f16 v115, v118, v115
	v_pack_b32_f16 v114, v116, v117
	;; [unrolled: 1-line block ×4, first 2 shown]
	v_accvgpr_read_b32 v116, a7
	global_store_dwordx4 v116, v[112:115], s[4:5]
	s_or_b64 exec, exec, s[14:15]
	s_and_saveexec_b64 s[12:13], s[10:11]
	s_cbranch_execz .LBB25_49
.LBB25_58:
	v_sub_f32_e32 v3, v3, v7
	v_sub_f32_e32 v2, v2, v6
	;; [unrolled: 1-line block ×8, first 2 shown]
	v_pk_mul_f32 v[0:1], s[6:7], v[0:1]
	v_pk_mul_f32 v[2:3], s[44:45], v[2:3]
	;; [unrolled: 1-line block ×4, first 2 shown]
	v_cvt_f16_f32_e32 v112, v3
	v_cvt_f16_f32_e32 v1, v1
	;; [unrolled: 1-line block ×8, first 2 shown]
	v_pack_b32_f16 v3, v6, v3
	v_pack_b32_f16 v2, v4, v5
	;; [unrolled: 1-line block ×4, first 2 shown]
	v_accvgpr_read_b32 v4, a6
	global_store_dwordx4 v4, v[0:3], s[4:5]
	s_or_b64 exec, exec, s[12:13]
	s_and_saveexec_b64 s[10:11], s[8:9]
	s_cbranch_execz .LBB25_50
.LBB25_59:
	v_sub_f32_e32 v1, v19, v23
	v_sub_f32_e32 v0, v18, v22
	;; [unrolled: 1-line block ×8, first 2 shown]
	v_pk_mul_f32 v[2:3], s[6:7], v[2:3]
	v_pk_mul_f32 v[0:1], s[44:45], v[0:1]
	;; [unrolled: 1-line block ×4, first 2 shown]
	v_cvt_f16_f32_e32 v8, v1
	v_cvt_f16_f32_e32 v1, v3
	;; [unrolled: 1-line block ×8, first 2 shown]
	v_pack_b32_f16 v3, v6, v3
	v_pack_b32_f16 v2, v4, v5
	v_pack_b32_f16 v1, v7, v1
	v_pack_b32_f16 v0, v0, v8
	v_accvgpr_read_b32 v4, a5
	global_store_dwordx4 v4, v[0:3], s[4:5]
	s_or_b64 exec, exec, s[10:11]
	s_and_saveexec_b64 s[8:9], s[40:41]
	s_cbranch_execz .LBB25_51
.LBB25_60:
	v_sub_f32_e32 v1, v35, v43
	v_sub_f32_e32 v0, v34, v42
	;; [unrolled: 1-line block ×8, first 2 shown]
	v_pk_mul_f32 v[2:3], s[6:7], v[2:3]
	v_pk_mul_f32 v[0:1], s[44:45], v[0:1]
	v_pk_mul_f32 v[6:7], s[6:7], v[6:7]
	v_pk_mul_f32 v[4:5], s[44:45], v[4:5]
	v_cvt_f16_f32_e32 v8, v1
	v_cvt_f16_f32_e32 v1, v3
	;; [unrolled: 1-line block ×8, first 2 shown]
	v_pack_b32_f16 v3, v6, v3
	v_pack_b32_f16 v2, v4, v5
	v_pack_b32_f16 v1, v7, v1
	v_pack_b32_f16 v0, v0, v8
	v_accvgpr_read_b32 v4, a3
	global_store_dwordx4 v4, v[0:3], s[4:5]
	s_or_b64 exec, exec, s[8:9]
	s_and_saveexec_b64 s[8:9], s[38:39]
	s_cbranch_execz .LBB25_52
.LBB25_61:
	v_sub_f32_e32 v1, v59, v63
	v_sub_f32_e32 v0, v58, v62
	;; [unrolled: 1-line block ×8, first 2 shown]
	v_pk_mul_f32 v[2:3], s[6:7], v[2:3]
	v_pk_mul_f32 v[0:1], s[44:45], v[0:1]
	;; [unrolled: 1-line block ×4, first 2 shown]
	v_cvt_f16_f32_e32 v8, v1
	v_cvt_f16_f32_e32 v1, v3
	;; [unrolled: 1-line block ×8, first 2 shown]
	v_pack_b32_f16 v3, v6, v3
	v_pack_b32_f16 v2, v4, v5
	;; [unrolled: 1-line block ×4, first 2 shown]
	v_accvgpr_read_b32 v4, a1
	global_store_dwordx4 v4, v[0:3], s[4:5]
	s_or_b64 exec, exec, s[8:9]
	s_and_saveexec_b64 s[8:9], s[2:3]
	s_cbranch_execz .LBB25_53
.LBB25_62:
	v_sub_f32_e32 v1, v75, v83
	v_sub_f32_e32 v0, v74, v82
	;; [unrolled: 1-line block ×4, first 2 shown]
	v_pk_mul_f32 v[2:3], s[6:7], v[2:3]
	v_pk_mul_f32 v[0:1], s[44:45], v[0:1]
	v_cvt_f16_f32_e32 v6, v1
	v_cvt_f16_f32_e32 v7, v0
	;; [unrolled: 1-line block ×4, first 2 shown]
	v_sub_f32_e32 v1, v67, v73
	v_sub_f32_e32 v0, v66, v72
	v_sub_f32_e32 v3, v65, v69
	v_sub_f32_e32 v2, v64, v68
	v_pk_mul_f32 v[2:3], s[6:7], v[2:3]
	v_pk_mul_f32 v[0:1], s[44:45], v[0:1]
	v_cvt_f16_f32_e32 v10, v1
	v_cvt_f16_f32_e32 v11, v0
	;; [unrolled: 1-line block ×4, first 2 shown]
	v_accvgpr_read_b32 v0, a4
	v_mov_b32_e32 v1, 0
	v_lshlrev_b64 v[0:1], 4, v[0:1]
	v_mov_b32_e32 v5, s5
	v_add_co_u32_e64 v4, s[2:3], s4, v0
	v_addc_co_u32_e64 v5, s[2:3], v5, v1, s[2:3]
	v_pack_b32_f16 v3, v2, v3
	v_pack_b32_f16 v2, v11, v10
	;; [unrolled: 1-line block ×4, first 2 shown]
	global_store_dwordx4 v[4:5], v[0:3], off
	s_or_b64 exec, exec, s[8:9]
	s_and_saveexec_b64 s[2:3], s[0:1]
	s_cbranch_execz .LBB25_54
.LBB25_63:
	v_sub_f32_e32 v1, v91, v95
	v_sub_f32_e32 v0, v90, v94
	;; [unrolled: 1-line block ×4, first 2 shown]
	v_pk_mul_f32 v[2:3], s[6:7], v[2:3]
	v_pk_mul_f32 v[0:1], s[44:45], v[0:1]
	v_cvt_f16_f32_e32 v6, v1
	v_cvt_f16_f32_e32 v7, v0
	;; [unrolled: 1-line block ×4, first 2 shown]
	v_sub_f32_e32 v1, v81, v89
	v_sub_f32_e32 v0, v80, v88
	;; [unrolled: 1-line block ×4, first 2 shown]
	v_pk_mul_f32 v[2:3], s[6:7], v[2:3]
	v_pk_mul_f32 v[0:1], s[44:45], v[0:1]
	v_cvt_f16_f32_e32 v10, v1
	v_cvt_f16_f32_e32 v11, v0
	;; [unrolled: 1-line block ×4, first 2 shown]
	v_accvgpr_read_b32 v0, a2
	v_mov_b32_e32 v1, 0
	v_lshlrev_b64 v[0:1], 4, v[0:1]
	v_mov_b32_e32 v5, s5
	v_add_co_u32_e64 v4, s[0:1], s4, v0
	v_addc_co_u32_e64 v5, s[0:1], v5, v1, s[0:1]
	v_pack_b32_f16 v3, v2, v3
	v_pack_b32_f16 v2, v11, v10
	v_pack_b32_f16 v1, v9, v8
	v_pack_b32_f16 v0, v7, v6
	global_store_dwordx4 v[4:5], v[0:3], off
	s_or_b64 exec, exec, s[2:3]
	s_and_saveexec_b64 s[0:1], vcc
	s_cbranch_execz .LBB25_55
.LBB25_64:
	v_sub_f32_e32 v1, v101, v109
	v_sub_f32_e32 v0, v100, v108
	;; [unrolled: 1-line block ×8, first 2 shown]
	v_pk_mul_f32 v[2:3], s[6:7], v[2:3]
	v_pk_mul_f32 v[0:1], s[44:45], v[0:1]
	v_cvt_f16_f32_e32 v8, v1
	v_cvt_f16_f32_e32 v9, v0
	;; [unrolled: 1-line block ×4, first 2 shown]
	v_pk_mul_f32 v[0:1], s[6:7], v[6:7]
	v_pk_mul_f32 v[2:3], s[44:45], v[4:5]
	v_cvt_f16_f32_e32 v6, v3
	v_cvt_f16_f32_e32 v2, v2
	;; [unrolled: 1-line block ×4, first 2 shown]
	v_accvgpr_read_b32 v0, a0
	v_mov_b32_e32 v1, 0
	v_lshlrev_b64 v[0:1], 4, v[0:1]
	v_mov_b32_e32 v5, s5
	v_add_co_u32_e32 v4, vcc, s4, v0
	v_addc_co_u32_e32 v5, vcc, v5, v1, vcc
	v_pack_b32_f16 v3, v7, v3
	v_pack_b32_f16 v2, v2, v6
	;; [unrolled: 1-line block ×4, first 2 shown]
	global_store_dwordx4 v[4:5], v[0:3], off
	s_endpgm
	.section	.rodata,"a",@progbits
	.p2align	6, 0x0
	.amdhsa_kernel _Z30fast_hadamard_transform_kernelI37fast_hadamard_transform_kernel_traitsILi256ELi15E6__halfEEv18HadamardParamsBase
		.amdhsa_group_segment_fixed_size 0
		.amdhsa_private_segment_fixed_size 0
		.amdhsa_kernarg_size 312
		.amdhsa_user_sgpr_count 6
		.amdhsa_user_sgpr_private_segment_buffer 1
		.amdhsa_user_sgpr_dispatch_ptr 0
		.amdhsa_user_sgpr_queue_ptr 0
		.amdhsa_user_sgpr_kernarg_segment_ptr 1
		.amdhsa_user_sgpr_dispatch_id 0
		.amdhsa_user_sgpr_flat_scratch_init 0
		.amdhsa_user_sgpr_kernarg_preload_length 0
		.amdhsa_user_sgpr_kernarg_preload_offset 0
		.amdhsa_user_sgpr_private_segment_size 0
		.amdhsa_uses_dynamic_stack 0
		.amdhsa_system_sgpr_private_segment_wavefront_offset 0
		.amdhsa_system_sgpr_workgroup_id_x 1
		.amdhsa_system_sgpr_workgroup_id_y 0
		.amdhsa_system_sgpr_workgroup_id_z 0
		.amdhsa_system_sgpr_workgroup_info 0
		.amdhsa_system_vgpr_workitem_id 0
		.amdhsa_next_free_vgpr 334
		.amdhsa_next_free_sgpr 48
		.amdhsa_accum_offset 256
		.amdhsa_reserve_vcc 1
		.amdhsa_reserve_flat_scratch 0
		.amdhsa_float_round_mode_32 0
		.amdhsa_float_round_mode_16_64 0
		.amdhsa_float_denorm_mode_32 3
		.amdhsa_float_denorm_mode_16_64 3
		.amdhsa_dx10_clamp 1
		.amdhsa_ieee_mode 1
		.amdhsa_fp16_overflow 0
		.amdhsa_tg_split 0
		.amdhsa_exception_fp_ieee_invalid_op 0
		.amdhsa_exception_fp_denorm_src 0
		.amdhsa_exception_fp_ieee_div_zero 0
		.amdhsa_exception_fp_ieee_overflow 0
		.amdhsa_exception_fp_ieee_underflow 0
		.amdhsa_exception_fp_ieee_inexact 0
		.amdhsa_exception_int_div_zero 0
	.end_amdhsa_kernel
	.section	.text._Z30fast_hadamard_transform_kernelI37fast_hadamard_transform_kernel_traitsILi256ELi15E6__halfEEv18HadamardParamsBase,"axG",@progbits,_Z30fast_hadamard_transform_kernelI37fast_hadamard_transform_kernel_traitsILi256ELi15E6__halfEEv18HadamardParamsBase,comdat
.Lfunc_end25:
	.size	_Z30fast_hadamard_transform_kernelI37fast_hadamard_transform_kernel_traitsILi256ELi15E6__halfEEv18HadamardParamsBase, .Lfunc_end25-_Z30fast_hadamard_transform_kernelI37fast_hadamard_transform_kernel_traitsILi256ELi15E6__halfEEv18HadamardParamsBase
                                        ; -- End function
	.section	.AMDGPU.csdata,"",@progbits
; Kernel info:
; codeLenInByte = 36984
; NumSgprs: 52
; NumVgprs: 256
; NumAgprs: 78
; TotalNumVgprs: 334
; ScratchSize: 0
; MemoryBound: 0
; FloatMode: 240
; IeeeMode: 1
; LDSByteSize: 0 bytes/workgroup (compile time only)
; SGPRBlocks: 6
; VGPRBlocks: 41
; NumSGPRsForWavesPerEU: 52
; NumVGPRsForWavesPerEU: 334
; AccumOffset: 256
; Occupancy: 1
; WaveLimiterHint : 0
; COMPUTE_PGM_RSRC2:SCRATCH_EN: 0
; COMPUTE_PGM_RSRC2:USER_SGPR: 6
; COMPUTE_PGM_RSRC2:TRAP_HANDLER: 0
; COMPUTE_PGM_RSRC2:TGID_X_EN: 1
; COMPUTE_PGM_RSRC2:TGID_Y_EN: 0
; COMPUTE_PGM_RSRC2:TGID_Z_EN: 0
; COMPUTE_PGM_RSRC2:TIDIG_COMP_CNT: 0
; COMPUTE_PGM_RSRC3_GFX90A:ACCUM_OFFSET: 63
; COMPUTE_PGM_RSRC3_GFX90A:TG_SPLIT: 0
	.section	.text._Z30fast_hadamard_transform_kernelI37fast_hadamard_transform_kernel_traitsILi1ELi3E14__hip_bfloat16EEv18HadamardParamsBase,"axG",@progbits,_Z30fast_hadamard_transform_kernelI37fast_hadamard_transform_kernel_traitsILi1ELi3E14__hip_bfloat16EEv18HadamardParamsBase,comdat
	.protected	_Z30fast_hadamard_transform_kernelI37fast_hadamard_transform_kernel_traitsILi1ELi3E14__hip_bfloat16EEv18HadamardParamsBase ; -- Begin function _Z30fast_hadamard_transform_kernelI37fast_hadamard_transform_kernel_traitsILi1ELi3E14__hip_bfloat16EEv18HadamardParamsBase
	.globl	_Z30fast_hadamard_transform_kernelI37fast_hadamard_transform_kernel_traitsILi1ELi3E14__hip_bfloat16EEv18HadamardParamsBase
	.p2align	8
	.type	_Z30fast_hadamard_transform_kernelI37fast_hadamard_transform_kernel_traitsILi1ELi3E14__hip_bfloat16EEv18HadamardParamsBase,@function
_Z30fast_hadamard_transform_kernelI37fast_hadamard_transform_kernel_traitsILi1ELi3E14__hip_bfloat16EEv18HadamardParamsBase: ; @_Z30fast_hadamard_transform_kernelI37fast_hadamard_transform_kernel_traitsILi1ELi3E14__hip_bfloat16EEv18HadamardParamsBase
; %bb.0:
	s_load_dword s3, s[4:5], 0x4
	s_load_dword s16, s[4:5], 0x20
	s_ashr_i32 s7, s6, 31
	s_mov_b32 s2, 0
	s_mov_b32 s8, s2
	s_waitcnt lgkmcnt(0)
	s_cmp_lg_u32 s3, 0
	s_cselect_b64 s[0:1], -1, 0
	s_cmp_eq_u32 s3, 0
	s_mov_b32 s3, s2
	s_mov_b32 s9, s2
	;; [unrolled: 1-line block ×6, first 2 shown]
	s_cbranch_scc1 .LBB26_2
; %bb.1:
	s_load_dwordx2 s[2:3], s[4:5], 0x10
	s_load_dwordx2 s[8:9], s[4:5], 0x28
	s_waitcnt lgkmcnt(0)
	s_mul_i32 s10, s2, s7
	s_mul_hi_u32 s11, s2, s6
	s_mul_i32 s3, s3, s6
	s_add_i32 s10, s11, s10
	s_mul_i32 s2, s2, s6
	s_add_i32 s3, s10, s3
	s_lshl_b64 s[2:3], s[2:3], 1
	s_add_u32 s2, s8, s2
	s_addc_u32 s3, s9, s3
	s_load_dwordx4 s[20:23], s[2:3], 0x0
	s_waitcnt lgkmcnt(0)
	s_pack_lh_b32_b16 s13, 0, s20
	s_lshl_b32 s12, s20, 16
	s_pack_lh_b32_b16 s11, 0, s21
	s_lshl_b32 s10, s21, 16
	;; [unrolled: 2-line block ×4, first 2 shown]
.LBB26_2:
	s_mov_b32 s14, s9
	s_mov_b32 s15, s13
	v_mov_b32_e32 v0, s8
	v_mov_b32_e32 v1, s12
	v_pk_add_f32 v[4:5], s[14:15], v[0:1]
	s_mov_b32 s14, s3
	s_mov_b32 s15, s11
	v_mov_b32_e32 v0, s2
	v_mov_b32_e32 v1, s10
	v_pk_add_f32 v[8:9], s[14:15], v[0:1]
	v_pk_add_f32 v[0:1], v[8:9], v[4:5]
	v_add_f32_e32 v2, v0, v1
	v_mul_f32_e32 v2, s16, v2
	s_mov_b32 s14, 0x7f800000
	v_and_b32_e32 v3, 0x7f800000, v2
	v_cmp_eq_u32_e32 vcc, s14, v3
	v_readfirstlane_b32 s18, v2
	s_cbranch_vccnz .LBB26_4
; %bb.3:
	s_bfe_u32 s14, s18, 0x10010
	s_add_i32 s14, s18, s14
	s_add_i32 s17, s14, 0x7fff
	s_cbranch_execz .LBB26_5
	s_branch .LBB26_6
.LBB26_4:
                                        ; implicit-def: $sgpr17
.LBB26_5:
	s_and_b32 s14, s18, 0xffff
	s_or_b32 s15, s18, 0x10000
	s_cmp_eq_u32 s14, 0
	s_cselect_b32 s17, s18, s15
.LBB26_6:
	v_mov_b32_e32 v2, s13
	v_pk_add_f32 v[10:11], s[12:13], v[2:3] neg_lo:[0,1] neg_hi:[0,1]
	v_mov_b32_e32 v2, s11
	v_pk_add_f32 v[12:13], s[10:11], v[2:3] neg_lo:[0,1] neg_hi:[0,1]
	;; [unrolled: 2-line block ×4, first 2 shown]
	v_pk_add_f32 v[2:3], v[12:13], v[10:11]
	v_pk_add_f32 v[6:7], v[16:17], v[14:15]
	v_add_f32_e32 v3, v6, v2
	v_mul_f32_e32 v3, s16, v3
	s_mov_b32 s2, 0x7f800000
	v_and_b32_e32 v7, 0x7f800000, v3
	v_cmp_eq_u32_e32 vcc, s2, v7
	v_readfirstlane_b32 s9, v3
	s_cbranch_vccnz .LBB26_8
; %bb.7:
	s_bfe_u32 s2, s9, 0x10010
	s_add_i32 s2, s9, s2
	s_add_i32 s8, s2, 0x7fff
	s_cbranch_execz .LBB26_9
	s_branch .LBB26_10
.LBB26_8:
                                        ; implicit-def: $sgpr8
.LBB26_9:
	s_and_b32 s2, s9, 0xffff
	s_or_b32 s3, s9, 0x10000
	s_cmp_eq_u32 s2, 0
	s_cselect_b32 s8, s9, s3
.LBB26_10:
	v_pk_add_f32 v[4:5], v[4:5], v[8:9] neg_lo:[0,1] neg_hi:[0,1]
	v_add_f32_e32 v3, v4, v5
	v_mul_f32_e32 v3, s16, v3
	s_mov_b32 s2, 0x7f800000
	v_and_b32_e32 v7, 0x7f800000, v3
	v_cmp_eq_u32_e32 vcc, s2, v7
	v_readfirstlane_b32 s10, v3
	s_cbranch_vccnz .LBB26_12
; %bb.11:
	s_bfe_u32 s2, s10, 0x10010
	s_add_i32 s2, s10, s2
	s_add_i32 s9, s2, 0x7fff
	s_cbranch_execz .LBB26_13
	s_branch .LBB26_14
.LBB26_12:
                                        ; implicit-def: $sgpr9
.LBB26_13:
	s_and_b32 s2, s10, 0xffff
	s_or_b32 s3, s10, 0x10000
	s_cmp_eq_u32 s2, 0
	s_cselect_b32 s9, s10, s3
.LBB26_14:
	v_pk_add_f32 v[8:9], v[10:11], v[12:13] neg_lo:[0,1] neg_hi:[0,1]
	v_pk_add_f32 v[10:11], v[14:15], v[16:17] neg_lo:[0,1] neg_hi:[0,1]
	v_add_f32_e32 v3, v10, v8
	v_mul_f32_e32 v3, s16, v3
	s_mov_b32 s2, 0x7f800000
	v_and_b32_e32 v7, 0x7f800000, v3
	v_cmp_eq_u32_e32 vcc, s2, v7
	v_readfirstlane_b32 s11, v3
	s_cbranch_vccnz .LBB26_16
; %bb.15:
	s_bfe_u32 s2, s11, 0x10010
	s_add_i32 s2, s11, s2
	s_add_i32 s10, s2, 0x7fff
	v_mov_b32_e32 v12, v1
	s_cbranch_execz .LBB26_17
	s_branch .LBB26_18
.LBB26_16:
                                        ; implicit-def: $sgpr10
	v_mov_b32_e32 v12, v1
.LBB26_17:
	s_and_b32 s2, s11, 0xffff
	s_or_b32 s3, s11, 0x10000
	s_cmp_eq_u32 s2, 0
	s_cselect_b32 s10, s11, s3
.LBB26_18:
	v_sub_f32_e32 v0, v12, v0
	v_mul_f32_e32 v0, s16, v0
	s_mov_b32 s2, 0x7f800000
	v_and_b32_e32 v1, 0x7f800000, v0
	v_cmp_eq_u32_e32 vcc, s2, v1
	v_readfirstlane_b32 s12, v0
	s_cbranch_vccnz .LBB26_20
; %bb.19:
	s_bfe_u32 s2, s12, 0x10010
	s_add_i32 s2, s12, s2
	s_add_i32 s11, s2, 0x7fff
	s_cbranch_execz .LBB26_21
	s_branch .LBB26_22
.LBB26_20:
                                        ; implicit-def: $sgpr11
.LBB26_21:
	s_and_b32 s2, s12, 0xffff
	s_or_b32 s3, s12, 0x10000
	s_cmp_eq_u32 s2, 0
	s_cselect_b32 s11, s12, s3
.LBB26_22:
	v_sub_f32_e32 v0, v2, v6
	v_mul_f32_e32 v0, s16, v0
	s_mov_b32 s2, 0x7f800000
	v_and_b32_e32 v1, 0x7f800000, v0
	v_cmp_eq_u32_e32 vcc, s2, v1
	v_readfirstlane_b32 s13, v0
	s_cbranch_vccnz .LBB26_24
; %bb.23:
	s_bfe_u32 s2, s13, 0x10010
	s_add_i32 s2, s13, s2
	s_add_i32 s12, s2, 0x7fff
	v_mov_b32_e32 v0, v5
	s_cbranch_execz .LBB26_25
	s_branch .LBB26_26
.LBB26_24:
                                        ; implicit-def: $sgpr12
	v_mov_b32_e32 v0, v5
.LBB26_25:
	s_and_b32 s2, s13, 0xffff
	s_or_b32 s3, s13, 0x10000
	s_cmp_eq_u32 s2, 0
	s_cselect_b32 s12, s13, s3
.LBB26_26:
	v_sub_f32_e32 v0, v0, v4
	v_mul_f32_e32 v0, s16, v0
	s_mov_b32 s2, 0x7f800000
	v_and_b32_e32 v1, 0x7f800000, v0
	v_cmp_eq_u32_e32 vcc, s2, v1
	v_readfirstlane_b32 s14, v0
	s_cbranch_vccnz .LBB26_28
; %bb.27:
	s_bfe_u32 s2, s14, 0x10010
	s_add_i32 s2, s14, s2
	s_add_i32 s13, s2, 0x7fff
	s_cbranch_execz .LBB26_29
	s_branch .LBB26_30
.LBB26_28:
                                        ; implicit-def: $sgpr13
.LBB26_29:
	s_and_b32 s2, s14, 0xffff
	s_or_b32 s3, s14, 0x10000
	s_cmp_eq_u32 s2, 0
	s_cselect_b32 s13, s14, s3
.LBB26_30:
	v_sub_f32_e32 v0, v8, v10
	v_mul_f32_e32 v0, s16, v0
	s_mov_b32 s2, 0x7f800000
	v_and_b32_e32 v1, 0x7f800000, v0
	v_cmp_eq_u32_e32 vcc, s2, v1
	v_readfirstlane_b32 s15, v0
	s_cbranch_vccnz .LBB26_32
; %bb.31:
	s_bfe_u32 s2, s15, 0x10010
	s_add_i32 s2, s15, s2
	s_add_i32 s14, s2, 0x7fff
	s_cbranch_execz .LBB26_33
	s_branch .LBB26_34
.LBB26_32:
                                        ; implicit-def: $sgpr14
.LBB26_33:
	s_and_b32 s2, s15, 0xffff
	s_or_b32 s3, s15, 0x10000
	s_cmp_eq_u32 s2, 0
	s_cselect_b32 s14, s15, s3
.LBB26_34:
	s_andn2_b64 vcc, exec, s[0:1]
	s_cbranch_vccz .LBB26_36
; %bb.35:
	s_endpgm
.LBB26_36:
	s_load_dwordx2 s[0:1], s[4:5], 0x18
	s_load_dwordx2 s[2:3], s[4:5], 0x30
	v_mov_b32_e32 v4, 0
	s_waitcnt lgkmcnt(0)
	s_mul_i32 s4, s0, s7
	s_mul_hi_u32 s5, s0, s6
	s_mul_i32 s1, s1, s6
	s_add_i32 s4, s5, s4
	s_mul_i32 s0, s0, s6
	s_add_i32 s1, s4, s1
	s_lshl_b64 s[0:1], s[0:1], 1
	s_add_u32 s0, s2, s0
	s_addc_u32 s1, s3, s1
	s_pack_hh_b32_b16 s2, s13, s14
	s_pack_hh_b32_b16 s3, s11, s12
	;; [unrolled: 1-line block ×4, first 2 shown]
	v_mov_b32_e32 v0, s5
	v_mov_b32_e32 v1, s4
	;; [unrolled: 1-line block ×4, first 2 shown]
	global_store_dwordx4 v4, v[0:3], s[0:1]
	s_endpgm
	.section	.rodata,"a",@progbits
	.p2align	6, 0x0
	.amdhsa_kernel _Z30fast_hadamard_transform_kernelI37fast_hadamard_transform_kernel_traitsILi1ELi3E14__hip_bfloat16EEv18HadamardParamsBase
		.amdhsa_group_segment_fixed_size 0
		.amdhsa_private_segment_fixed_size 0
		.amdhsa_kernarg_size 56
		.amdhsa_user_sgpr_count 6
		.amdhsa_user_sgpr_private_segment_buffer 1
		.amdhsa_user_sgpr_dispatch_ptr 0
		.amdhsa_user_sgpr_queue_ptr 0
		.amdhsa_user_sgpr_kernarg_segment_ptr 1
		.amdhsa_user_sgpr_dispatch_id 0
		.amdhsa_user_sgpr_flat_scratch_init 0
		.amdhsa_user_sgpr_kernarg_preload_length 0
		.amdhsa_user_sgpr_kernarg_preload_offset 0
		.amdhsa_user_sgpr_private_segment_size 0
		.amdhsa_uses_dynamic_stack 0
		.amdhsa_system_sgpr_private_segment_wavefront_offset 0
		.amdhsa_system_sgpr_workgroup_id_x 1
		.amdhsa_system_sgpr_workgroup_id_y 0
		.amdhsa_system_sgpr_workgroup_id_z 0
		.amdhsa_system_sgpr_workgroup_info 0
		.amdhsa_system_vgpr_workitem_id 0
		.amdhsa_next_free_vgpr 18
		.amdhsa_next_free_sgpr 24
		.amdhsa_accum_offset 20
		.amdhsa_reserve_vcc 1
		.amdhsa_reserve_flat_scratch 0
		.amdhsa_float_round_mode_32 0
		.amdhsa_float_round_mode_16_64 0
		.amdhsa_float_denorm_mode_32 3
		.amdhsa_float_denorm_mode_16_64 3
		.amdhsa_dx10_clamp 1
		.amdhsa_ieee_mode 1
		.amdhsa_fp16_overflow 0
		.amdhsa_tg_split 0
		.amdhsa_exception_fp_ieee_invalid_op 0
		.amdhsa_exception_fp_denorm_src 0
		.amdhsa_exception_fp_ieee_div_zero 0
		.amdhsa_exception_fp_ieee_overflow 0
		.amdhsa_exception_fp_ieee_underflow 0
		.amdhsa_exception_fp_ieee_inexact 0
		.amdhsa_exception_int_div_zero 0
	.end_amdhsa_kernel
	.section	.text._Z30fast_hadamard_transform_kernelI37fast_hadamard_transform_kernel_traitsILi1ELi3E14__hip_bfloat16EEv18HadamardParamsBase,"axG",@progbits,_Z30fast_hadamard_transform_kernelI37fast_hadamard_transform_kernel_traitsILi1ELi3E14__hip_bfloat16EEv18HadamardParamsBase,comdat
.Lfunc_end26:
	.size	_Z30fast_hadamard_transform_kernelI37fast_hadamard_transform_kernel_traitsILi1ELi3E14__hip_bfloat16EEv18HadamardParamsBase, .Lfunc_end26-_Z30fast_hadamard_transform_kernelI37fast_hadamard_transform_kernel_traitsILi1ELi3E14__hip_bfloat16EEv18HadamardParamsBase
                                        ; -- End function
	.section	.AMDGPU.csdata,"",@progbits
; Kernel info:
; codeLenInByte = 1152
; NumSgprs: 28
; NumVgprs: 18
; NumAgprs: 0
; TotalNumVgprs: 18
; ScratchSize: 0
; MemoryBound: 0
; FloatMode: 240
; IeeeMode: 1
; LDSByteSize: 0 bytes/workgroup (compile time only)
; SGPRBlocks: 3
; VGPRBlocks: 2
; NumSGPRsForWavesPerEU: 28
; NumVGPRsForWavesPerEU: 18
; AccumOffset: 20
; Occupancy: 8
; WaveLimiterHint : 0
; COMPUTE_PGM_RSRC2:SCRATCH_EN: 0
; COMPUTE_PGM_RSRC2:USER_SGPR: 6
; COMPUTE_PGM_RSRC2:TRAP_HANDLER: 0
; COMPUTE_PGM_RSRC2:TGID_X_EN: 1
; COMPUTE_PGM_RSRC2:TGID_Y_EN: 0
; COMPUTE_PGM_RSRC2:TGID_Z_EN: 0
; COMPUTE_PGM_RSRC2:TIDIG_COMP_CNT: 0
; COMPUTE_PGM_RSRC3_GFX90A:ACCUM_OFFSET: 4
; COMPUTE_PGM_RSRC3_GFX90A:TG_SPLIT: 0
	.section	.text._Z30fast_hadamard_transform_kernelI37fast_hadamard_transform_kernel_traitsILi2ELi4E14__hip_bfloat16EEv18HadamardParamsBase,"axG",@progbits,_Z30fast_hadamard_transform_kernelI37fast_hadamard_transform_kernel_traitsILi2ELi4E14__hip_bfloat16EEv18HadamardParamsBase,comdat
	.protected	_Z30fast_hadamard_transform_kernelI37fast_hadamard_transform_kernel_traitsILi2ELi4E14__hip_bfloat16EEv18HadamardParamsBase ; -- Begin function _Z30fast_hadamard_transform_kernelI37fast_hadamard_transform_kernel_traitsILi2ELi4E14__hip_bfloat16EEv18HadamardParamsBase
	.globl	_Z30fast_hadamard_transform_kernelI37fast_hadamard_transform_kernel_traitsILi2ELi4E14__hip_bfloat16EEv18HadamardParamsBase
	.p2align	8
	.type	_Z30fast_hadamard_transform_kernelI37fast_hadamard_transform_kernel_traitsILi2ELi4E14__hip_bfloat16EEv18HadamardParamsBase,@function
_Z30fast_hadamard_transform_kernelI37fast_hadamard_transform_kernel_traitsILi2ELi4E14__hip_bfloat16EEv18HadamardParamsBase: ; @_Z30fast_hadamard_transform_kernelI37fast_hadamard_transform_kernel_traitsILi2ELi4E14__hip_bfloat16EEv18HadamardParamsBase
; %bb.0:
	s_load_dword s0, s[4:5], 0x4
	s_load_dword s10, s[4:5], 0x20
	v_lshlrev_b32_e32 v1, 3, v0
	v_mov_b32_e32 v2, 0
	s_ashr_i32 s7, s6, 31
	s_waitcnt lgkmcnt(0)
	v_cmp_gt_u32_e32 vcc, s0, v1
	v_lshlrev_b32_e32 v1, 4, v0
	v_mov_b32_e32 v3, v2
	v_mov_b32_e32 v6, v2
	;; [unrolled: 1-line block ×7, first 2 shown]
	s_and_saveexec_b64 s[0:1], vcc
	s_cbranch_execz .LBB27_2
; %bb.1:
	s_load_dwordx2 s[2:3], s[4:5], 0x10
	s_load_dwordx2 s[8:9], s[4:5], 0x28
	s_waitcnt lgkmcnt(0)
	s_mul_i32 s11, s2, s7
	s_mul_hi_u32 s12, s2, s6
	s_mul_i32 s3, s3, s6
	s_add_i32 s11, s12, s11
	s_mul_i32 s2, s2, s6
	s_add_i32 s3, s11, s3
	s_lshl_b64 s[2:3], s[2:3], 1
	s_add_u32 s2, s8, s2
	s_addc_u32 s3, s9, s3
	global_load_dwordx4 v[10:13], v1, s[2:3]
	s_waitcnt vmcnt(0)
	v_and_b32_e32 v9, 0xffff0000, v10
	v_lshlrev_b32_e32 v8, 16, v10
	v_and_b32_e32 v5, 0xffff0000, v11
	v_lshlrev_b32_e32 v4, 16, v11
	;; [unrolled: 2-line block ×4, first 2 shown]
.LBB27_2:
	s_or_b64 exec, exec, s[0:1]
	v_mov_b32_e32 v10, v9
	v_mov_b32_e32 v12, v5
	v_pk_add_f32 v[10:11], v[8:9], v[10:11] op_sel_hi:[1,0] neg_lo:[0,1] neg_hi:[0,1]
	v_pk_add_f32 v[12:13], v[4:5], v[12:13] op_sel_hi:[1,0] neg_lo:[0,1] neg_hi:[0,1]
	v_mov_b32_e32 v14, v7
	v_mov_b32_e32 v16, v3
	v_pk_add_f32 v[14:15], v[6:7], v[14:15] op_sel_hi:[1,0] neg_lo:[0,1] neg_hi:[0,1]
	v_pk_add_f32 v[16:17], v[2:3], v[16:17] op_sel_hi:[1,0] neg_lo:[0,1] neg_hi:[0,1]
	v_pk_add_f32 v[18:19], v[12:13], v[10:11]
	v_pk_add_f32 v[20:21], v[10:11], v[12:13] neg_lo:[0,1] neg_hi:[0,1]
	v_mov_b32_e32 v10, v7
	v_mov_b32_e32 v11, v9
	;; [unrolled: 1-line block ×6, first 2 shown]
	v_pk_add_f32 v[6:7], v[10:11], v[6:7]
	v_pk_add_f32 v[2:3], v[8:9], v[2:3]
	v_pk_add_f32 v[4:5], v[6:7], v[2:3] neg_lo:[0,1] neg_hi:[0,1]
	v_pk_add_f32 v[2:3], v[2:3], v[6:7]
	v_mov_b32_e32 v8, v3
	v_pk_add_f32 v[22:23], v[2:3], v[8:9]
	v_pk_add_f32 v[8:9], v[8:9], v[2:3] neg_lo:[0,1] neg_hi:[0,1]
	v_mov_b32_e32 v2, v5
	v_pk_add_f32 v[12:13], v[4:5], v[2:3]
	v_pk_add_f32 v[4:5], v[2:3], v[4:5] neg_lo:[0,1] neg_hi:[0,1]
	v_mbcnt_lo_u32_b32 v2, -1, 0
	v_mbcnt_hi_u32_b32 v2, -1, v2
	v_and_b32_e32 v5, 64, v2
	v_xor_b32_e32 v3, 1, v2
	v_add_u32_e32 v5, 64, v5
	v_cmp_lt_i32_e64 s[0:1], v3, v5
	v_pk_add_f32 v[6:7], v[16:17], v[14:15]
	v_cndmask_b32_e64 v2, v2, v3, s[0:1]
	v_pk_add_f32 v[16:17], v[14:15], v[16:17] neg_lo:[0,1] neg_hi:[0,1]
	v_pk_add_f32 v[14:15], v[6:7], v[18:19]
	v_pk_add_f32 v[6:7], v[18:19], v[6:7] neg_lo:[0,1] neg_hi:[0,1]
	v_lshlrev_b32_e32 v5, 2, v2
	ds_bpermute_b32 v7, v5, v22
	v_cmp_eq_u32_e64 s[0:1], 0, v0
	v_pk_add_f32 v[10:11], v[16:17], v[20:21]
	v_pk_add_f32 v[2:3], v[20:21], v[16:17] neg_lo:[0,1] neg_hi:[0,1]
	v_cndmask_b32_e64 v0, -v22, v22, s[0:1]
	s_waitcnt lgkmcnt(0)
	v_add_f32_e32 v0, v0, v7
	ds_bpermute_b32 v3, v5, v14
	ds_bpermute_b32 v7, v5, v12
	;; [unrolled: 1-line block ×7, first 2 shown]
	v_mul_f32_e32 v16, s10, v0
	s_mov_b32 s2, 0x7f800000
	v_and_b32_e32 v0, 0x7f800000, v16
	v_cmp_ne_u32_e64 s[2:3], s2, v0
                                        ; implicit-def: $vgpr0
	s_and_saveexec_b64 s[8:9], s[2:3]
	s_xor_b64 s[2:3], exec, s[8:9]
; %bb.3:
	v_bfe_u32 v0, v16, 16, 1
	s_movk_i32 s8, 0x7fff
	v_add3_u32 v0, v16, v0, s8
                                        ; implicit-def: $vgpr16
; %bb.4:
	s_andn2_saveexec_b64 s[8:9], s[2:3]
; %bb.5:
	v_mov_b32_e32 v0, 0
	v_or_b32_e32 v17, 0x10000, v16
	v_cmp_eq_u32_sdwa s[2:3], v16, v0 src0_sel:WORD_0 src1_sel:DWORD
	v_cndmask_b32_e64 v0, v17, v16, s[2:3]
; %bb.6:
	s_or_b64 exec, exec, s[8:9]
	v_cndmask_b32_e64 v14, -v14, v14, s[0:1]
	s_waitcnt lgkmcnt(6)
	v_add_f32_e32 v3, v14, v3
	v_mul_f32_e32 v14, s10, v3
	s_mov_b32 s2, 0x7f800000
	v_and_b32_e32 v3, 0x7f800000, v14
	v_cmp_ne_u32_e64 s[2:3], s2, v3
                                        ; implicit-def: $vgpr3
	s_and_saveexec_b64 s[8:9], s[2:3]
	s_xor_b64 s[2:3], exec, s[8:9]
; %bb.7:
	v_bfe_u32 v3, v14, 16, 1
	s_movk_i32 s8, 0x7fff
	v_add3_u32 v3, v14, v3, s8
                                        ; implicit-def: $vgpr14
; %bb.8:
	s_andn2_saveexec_b64 s[8:9], s[2:3]
; %bb.9:
	v_mov_b32_e32 v3, 0
	v_or_b32_e32 v16, 0x10000, v14
	v_cmp_eq_u32_sdwa s[2:3], v14, v3 src0_sel:WORD_0 src1_sel:DWORD
	v_cndmask_b32_e64 v3, v16, v14, s[2:3]
; %bb.10:
	s_or_b64 exec, exec, s[8:9]
	v_cndmask_b32_e64 v12, -v12, v12, s[0:1]
	s_waitcnt lgkmcnt(5)
	v_add_f32_e32 v7, v12, v7
	v_mul_f32_e32 v12, s10, v7
	s_mov_b32 s2, 0x7f800000
	v_and_b32_e32 v7, 0x7f800000, v12
	v_cmp_ne_u32_e64 s[2:3], s2, v7
                                        ; implicit-def: $vgpr7
	s_and_saveexec_b64 s[8:9], s[2:3]
	s_xor_b64 s[2:3], exec, s[8:9]
; %bb.11:
	v_bfe_u32 v7, v12, 16, 1
	s_movk_i32 s8, 0x7fff
	v_add3_u32 v7, v12, v7, s8
                                        ; implicit-def: $vgpr12
; %bb.12:
	s_andn2_saveexec_b64 s[8:9], s[2:3]
; %bb.13:
	v_mov_b32_e32 v7, 0
	v_or_b32_e32 v14, 0x10000, v12
	v_cmp_eq_u32_sdwa s[2:3], v12, v7 src0_sel:WORD_0 src1_sel:DWORD
	v_cndmask_b32_e64 v7, v14, v12, s[2:3]
; %bb.14:
	s_or_b64 exec, exec, s[8:9]
	v_cndmask_b32_e64 v10, -v10, v10, s[0:1]
	s_waitcnt lgkmcnt(4)
	v_add_f32_e32 v10, v10, v15
	v_mul_f32_e32 v12, s10, v10
	s_mov_b32 s2, 0x7f800000
	v_and_b32_e32 v10, 0x7f800000, v12
	v_cmp_ne_u32_e64 s[2:3], s2, v10
                                        ; implicit-def: $vgpr10
	s_and_saveexec_b64 s[8:9], s[2:3]
	s_xor_b64 s[2:3], exec, s[8:9]
; %bb.15:
	v_bfe_u32 v10, v12, 16, 1
	s_movk_i32 s8, 0x7fff
	v_add3_u32 v10, v12, v10, s8
                                        ; implicit-def: $vgpr12
; %bb.16:
	s_andn2_saveexec_b64 s[8:9], s[2:3]
; %bb.17:
	v_mov_b32_e32 v10, 0
	v_or_b32_e32 v14, 0x10000, v12
	v_cmp_eq_u32_sdwa s[2:3], v12, v10 src0_sel:WORD_0 src1_sel:DWORD
	v_cndmask_b32_e64 v10, v14, v12, s[2:3]
; %bb.18:
	s_or_b64 exec, exec, s[8:9]
	v_cndmask_b32_e64 v8, -v8, v8, s[0:1]
	s_waitcnt lgkmcnt(3)
	v_add_f32_e32 v8, v8, v13
	v_mul_f32_e32 v12, s10, v8
	s_mov_b32 s2, 0x7f800000
	v_and_b32_e32 v8, 0x7f800000, v12
	v_cmp_ne_u32_e64 s[2:3], s2, v8
                                        ; implicit-def: $vgpr8
	s_and_saveexec_b64 s[8:9], s[2:3]
	s_xor_b64 s[2:3], exec, s[8:9]
; %bb.19:
	v_bfe_u32 v8, v12, 16, 1
	s_movk_i32 s8, 0x7fff
	v_add3_u32 v8, v12, v8, s8
                                        ; implicit-def: $vgpr12
; %bb.20:
	s_andn2_saveexec_b64 s[8:9], s[2:3]
; %bb.21:
	v_mov_b32_e32 v8, 0
	v_or_b32_e32 v13, 0x10000, v12
	v_cmp_eq_u32_sdwa s[2:3], v12, v8 src0_sel:WORD_0 src1_sel:DWORD
	v_cndmask_b32_e64 v8, v13, v12, s[2:3]
; %bb.22:
	s_or_b64 exec, exec, s[8:9]
	v_cndmask_b32_e64 v6, -v6, v6, s[0:1]
	s_waitcnt lgkmcnt(2)
	v_add_f32_e32 v6, v6, v11
	v_mul_f32_e32 v11, s10, v6
	s_mov_b32 s2, 0x7f800000
	v_and_b32_e32 v6, 0x7f800000, v11
	v_cmp_ne_u32_e64 s[2:3], s2, v6
                                        ; implicit-def: $vgpr6
	s_and_saveexec_b64 s[8:9], s[2:3]
	s_xor_b64 s[2:3], exec, s[8:9]
; %bb.23:
	v_bfe_u32 v6, v11, 16, 1
	s_movk_i32 s8, 0x7fff
	v_add3_u32 v6, v11, v6, s8
                                        ; implicit-def: $vgpr11
; %bb.24:
	s_andn2_saveexec_b64 s[8:9], s[2:3]
; %bb.25:
	v_mov_b32_e32 v6, 0
	v_or_b32_e32 v12, 0x10000, v11
	v_cmp_eq_u32_sdwa s[2:3], v11, v6 src0_sel:WORD_0 src1_sel:DWORD
	v_cndmask_b32_e64 v6, v12, v11, s[2:3]
; %bb.26:
	s_or_b64 exec, exec, s[8:9]
	v_cndmask_b32_e64 v4, -v4, v4, s[0:1]
	s_waitcnt lgkmcnt(1)
	v_add_f32_e32 v4, v4, v9
	v_mul_f32_e32 v9, s10, v4
	s_mov_b32 s2, 0x7f800000
	v_and_b32_e32 v4, 0x7f800000, v9
	v_cmp_ne_u32_e64 s[2:3], s2, v4
                                        ; implicit-def: $vgpr4
	s_and_saveexec_b64 s[8:9], s[2:3]
	s_xor_b64 s[2:3], exec, s[8:9]
; %bb.27:
	v_bfe_u32 v4, v9, 16, 1
	s_movk_i32 s8, 0x7fff
	v_add3_u32 v4, v9, v4, s8
                                        ; implicit-def: $vgpr9
; %bb.28:
	s_andn2_saveexec_b64 s[8:9], s[2:3]
; %bb.29:
	v_mov_b32_e32 v4, 0
	v_or_b32_e32 v11, 0x10000, v9
	v_cmp_eq_u32_sdwa s[2:3], v9, v4 src0_sel:WORD_0 src1_sel:DWORD
	v_cndmask_b32_e64 v4, v11, v9, s[2:3]
; %bb.30:
	s_or_b64 exec, exec, s[8:9]
	v_cndmask_b32_e64 v2, -v2, v2, s[0:1]
	s_waitcnt lgkmcnt(0)
	v_add_f32_e32 v2, v2, v5
	v_mul_f32_e32 v5, s10, v2
	s_mov_b32 s0, 0x7f800000
	v_and_b32_e32 v2, 0x7f800000, v5
	v_cmp_ne_u32_e64 s[0:1], s0, v2
                                        ; implicit-def: $vgpr2
	s_and_saveexec_b64 s[2:3], s[0:1]
	s_xor_b64 s[0:1], exec, s[2:3]
	s_cbranch_execnz .LBB27_34
; %bb.31:
	s_andn2_saveexec_b64 s[2:3], s[0:1]
	s_cbranch_execnz .LBB27_35
.LBB27_32:
	s_or_b64 exec, exec, s[2:3]
	s_and_saveexec_b64 s[0:1], vcc
	s_cbranch_execnz .LBB27_36
.LBB27_33:
	s_endpgm
.LBB27_34:
	v_bfe_u32 v2, v5, 16, 1
	s_movk_i32 s2, 0x7fff
	v_add3_u32 v2, v5, v2, s2
                                        ; implicit-def: $vgpr5
	s_andn2_saveexec_b64 s[2:3], s[0:1]
	s_cbranch_execz .LBB27_32
.LBB27_35:
	v_mov_b32_e32 v2, 0
	v_or_b32_e32 v9, 0x10000, v5
	v_cmp_eq_u32_sdwa s[0:1], v5, v2 src0_sel:WORD_0 src1_sel:DWORD
	v_cndmask_b32_e64 v2, v9, v5, s[0:1]
	s_or_b64 exec, exec, s[2:3]
	s_and_saveexec_b64 s[0:1], vcc
	s_cbranch_execz .LBB27_33
.LBB27_36:
	s_load_dwordx2 s[0:1], s[4:5], 0x18
	s_load_dwordx2 s[2:3], s[4:5], 0x30
	s_waitcnt lgkmcnt(0)
	s_mul_i32 s4, s0, s7
	s_mul_hi_u32 s5, s0, s6
	s_mul_i32 s1, s1, s6
	s_add_i32 s4, s5, s4
	s_mul_i32 s0, s0, s6
	s_add_i32 s1, s4, s1
	s_lshl_b64 s[0:1], s[0:1], 1
	s_add_u32 s0, s2, s0
	s_mov_b32 s2, 0x7060302
	s_addc_u32 s1, s3, s1
	v_perm_b32 v9, v2, v4, s2
	v_perm_b32 v8, v6, v8, s2
	;; [unrolled: 1-line block ×4, first 2 shown]
	global_store_dwordx4 v1, v[6:9], s[0:1]
	s_endpgm
	.section	.rodata,"a",@progbits
	.p2align	6, 0x0
	.amdhsa_kernel _Z30fast_hadamard_transform_kernelI37fast_hadamard_transform_kernel_traitsILi2ELi4E14__hip_bfloat16EEv18HadamardParamsBase
		.amdhsa_group_segment_fixed_size 0
		.amdhsa_private_segment_fixed_size 0
		.amdhsa_kernarg_size 56
		.amdhsa_user_sgpr_count 6
		.amdhsa_user_sgpr_private_segment_buffer 1
		.amdhsa_user_sgpr_dispatch_ptr 0
		.amdhsa_user_sgpr_queue_ptr 0
		.amdhsa_user_sgpr_kernarg_segment_ptr 1
		.amdhsa_user_sgpr_dispatch_id 0
		.amdhsa_user_sgpr_flat_scratch_init 0
		.amdhsa_user_sgpr_kernarg_preload_length 0
		.amdhsa_user_sgpr_kernarg_preload_offset 0
		.amdhsa_user_sgpr_private_segment_size 0
		.amdhsa_uses_dynamic_stack 0
		.amdhsa_system_sgpr_private_segment_wavefront_offset 0
		.amdhsa_system_sgpr_workgroup_id_x 1
		.amdhsa_system_sgpr_workgroup_id_y 0
		.amdhsa_system_sgpr_workgroup_id_z 0
		.amdhsa_system_sgpr_workgroup_info 0
		.amdhsa_system_vgpr_workitem_id 0
		.amdhsa_next_free_vgpr 24
		.amdhsa_next_free_sgpr 13
		.amdhsa_accum_offset 24
		.amdhsa_reserve_vcc 1
		.amdhsa_reserve_flat_scratch 0
		.amdhsa_float_round_mode_32 0
		.amdhsa_float_round_mode_16_64 0
		.amdhsa_float_denorm_mode_32 3
		.amdhsa_float_denorm_mode_16_64 3
		.amdhsa_dx10_clamp 1
		.amdhsa_ieee_mode 1
		.amdhsa_fp16_overflow 0
		.amdhsa_tg_split 0
		.amdhsa_exception_fp_ieee_invalid_op 0
		.amdhsa_exception_fp_denorm_src 0
		.amdhsa_exception_fp_ieee_div_zero 0
		.amdhsa_exception_fp_ieee_overflow 0
		.amdhsa_exception_fp_ieee_underflow 0
		.amdhsa_exception_fp_ieee_inexact 0
		.amdhsa_exception_int_div_zero 0
	.end_amdhsa_kernel
	.section	.text._Z30fast_hadamard_transform_kernelI37fast_hadamard_transform_kernel_traitsILi2ELi4E14__hip_bfloat16EEv18HadamardParamsBase,"axG",@progbits,_Z30fast_hadamard_transform_kernelI37fast_hadamard_transform_kernel_traitsILi2ELi4E14__hip_bfloat16EEv18HadamardParamsBase,comdat
.Lfunc_end27:
	.size	_Z30fast_hadamard_transform_kernelI37fast_hadamard_transform_kernel_traitsILi2ELi4E14__hip_bfloat16EEv18HadamardParamsBase, .Lfunc_end27-_Z30fast_hadamard_transform_kernelI37fast_hadamard_transform_kernel_traitsILi2ELi4E14__hip_bfloat16EEv18HadamardParamsBase
                                        ; -- End function
	.section	.AMDGPU.csdata,"",@progbits
; Kernel info:
; codeLenInByte = 1536
; NumSgprs: 17
; NumVgprs: 24
; NumAgprs: 0
; TotalNumVgprs: 24
; ScratchSize: 0
; MemoryBound: 0
; FloatMode: 240
; IeeeMode: 1
; LDSByteSize: 0 bytes/workgroup (compile time only)
; SGPRBlocks: 2
; VGPRBlocks: 2
; NumSGPRsForWavesPerEU: 17
; NumVGPRsForWavesPerEU: 24
; AccumOffset: 24
; Occupancy: 8
; WaveLimiterHint : 0
; COMPUTE_PGM_RSRC2:SCRATCH_EN: 0
; COMPUTE_PGM_RSRC2:USER_SGPR: 6
; COMPUTE_PGM_RSRC2:TRAP_HANDLER: 0
; COMPUTE_PGM_RSRC2:TGID_X_EN: 1
; COMPUTE_PGM_RSRC2:TGID_Y_EN: 0
; COMPUTE_PGM_RSRC2:TGID_Z_EN: 0
; COMPUTE_PGM_RSRC2:TIDIG_COMP_CNT: 0
; COMPUTE_PGM_RSRC3_GFX90A:ACCUM_OFFSET: 5
; COMPUTE_PGM_RSRC3_GFX90A:TG_SPLIT: 0
	.section	.text._Z30fast_hadamard_transform_kernelI37fast_hadamard_transform_kernel_traitsILi4ELi5E14__hip_bfloat16EEv18HadamardParamsBase,"axG",@progbits,_Z30fast_hadamard_transform_kernelI37fast_hadamard_transform_kernel_traitsILi4ELi5E14__hip_bfloat16EEv18HadamardParamsBase,comdat
	.protected	_Z30fast_hadamard_transform_kernelI37fast_hadamard_transform_kernel_traitsILi4ELi5E14__hip_bfloat16EEv18HadamardParamsBase ; -- Begin function _Z30fast_hadamard_transform_kernelI37fast_hadamard_transform_kernel_traitsILi4ELi5E14__hip_bfloat16EEv18HadamardParamsBase
	.globl	_Z30fast_hadamard_transform_kernelI37fast_hadamard_transform_kernel_traitsILi4ELi5E14__hip_bfloat16EEv18HadamardParamsBase
	.p2align	8
	.type	_Z30fast_hadamard_transform_kernelI37fast_hadamard_transform_kernel_traitsILi4ELi5E14__hip_bfloat16EEv18HadamardParamsBase,@function
_Z30fast_hadamard_transform_kernelI37fast_hadamard_transform_kernel_traitsILi4ELi5E14__hip_bfloat16EEv18HadamardParamsBase: ; @_Z30fast_hadamard_transform_kernelI37fast_hadamard_transform_kernel_traitsILi4ELi5E14__hip_bfloat16EEv18HadamardParamsBase
; %bb.0:
	s_load_dword s0, s[4:5], 0x4
	s_load_dword s10, s[4:5], 0x20
	v_lshlrev_b32_e32 v1, 3, v0
	v_mov_b32_e32 v2, 0
	s_ashr_i32 s7, s6, 31
	s_waitcnt lgkmcnt(0)
	v_cmp_gt_u32_e32 vcc, s0, v1
	v_lshlrev_b32_e32 v1, 4, v0
	v_mov_b32_e32 v3, v2
	v_mov_b32_e32 v6, v2
	v_mov_b32_e32 v7, v2
	v_mov_b32_e32 v4, v2
	v_mov_b32_e32 v5, v2
	v_mov_b32_e32 v8, v2
	v_mov_b32_e32 v9, v2
	s_and_saveexec_b64 s[0:1], vcc
	s_cbranch_execz .LBB28_2
; %bb.1:
	s_load_dwordx2 s[2:3], s[4:5], 0x10
	s_load_dwordx2 s[8:9], s[4:5], 0x28
	s_waitcnt lgkmcnt(0)
	s_mul_i32 s11, s2, s7
	s_mul_hi_u32 s12, s2, s6
	s_mul_i32 s3, s3, s6
	s_add_i32 s11, s12, s11
	s_mul_i32 s2, s2, s6
	s_add_i32 s3, s11, s3
	s_lshl_b64 s[2:3], s[2:3], 1
	s_add_u32 s2, s8, s2
	s_addc_u32 s3, s9, s3
	global_load_dwordx4 v[10:13], v1, s[2:3]
	s_waitcnt vmcnt(0)
	v_and_b32_e32 v9, 0xffff0000, v10
	v_lshlrev_b32_e32 v8, 16, v10
	v_and_b32_e32 v5, 0xffff0000, v11
	v_lshlrev_b32_e32 v4, 16, v11
	;; [unrolled: 2-line block ×4, first 2 shown]
.LBB28_2:
	s_or_b64 exec, exec, s[0:1]
	v_mov_b32_e32 v10, v9
	v_mov_b32_e32 v12, v5
	v_pk_add_f32 v[10:11], v[8:9], v[10:11] op_sel_hi:[1,0] neg_lo:[0,1] neg_hi:[0,1]
	v_pk_add_f32 v[12:13], v[4:5], v[12:13] op_sel_hi:[1,0] neg_lo:[0,1] neg_hi:[0,1]
	v_mov_b32_e32 v14, v7
	v_mov_b32_e32 v16, v3
	v_pk_add_f32 v[14:15], v[6:7], v[14:15] op_sel_hi:[1,0] neg_lo:[0,1] neg_hi:[0,1]
	v_pk_add_f32 v[16:17], v[2:3], v[16:17] op_sel_hi:[1,0] neg_lo:[0,1] neg_hi:[0,1]
	v_pk_add_f32 v[18:19], v[12:13], v[10:11]
	v_pk_add_f32 v[10:11], v[10:11], v[12:13] neg_lo:[0,1] neg_hi:[0,1]
	v_mov_b32_e32 v12, v7
	v_mov_b32_e32 v13, v9
	;; [unrolled: 1-line block ×6, first 2 shown]
	v_pk_add_f32 v[6:7], v[12:13], v[6:7]
	v_pk_add_f32 v[2:3], v[8:9], v[2:3]
	v_pk_add_f32 v[4:5], v[6:7], v[2:3] neg_lo:[0,1] neg_hi:[0,1]
	v_pk_add_f32 v[2:3], v[2:3], v[6:7]
	v_pk_add_f32 v[6:7], v[16:17], v[14:15]
	v_mov_b32_e32 v12, v3
	v_pk_add_f32 v[8:9], v[14:15], v[16:17] neg_lo:[0,1] neg_hi:[0,1]
	v_pk_add_f32 v[14:15], v[2:3], v[12:13]
	v_pk_add_f32 v[12:13], v[12:13], v[2:3] neg_lo:[0,1] neg_hi:[0,1]
	v_pk_add_f32 v[2:3], v[6:7], v[18:19]
	v_pk_add_f32 v[16:17], v[18:19], v[6:7] neg_lo:[0,1] neg_hi:[0,1]
	v_mov_b32_e32 v6, v5
	v_mbcnt_lo_u32_b32 v3, -1, 0
	v_pk_add_f32 v[18:19], v[4:5], v[6:7]
	v_pk_add_f32 v[4:5], v[6:7], v[4:5] neg_lo:[0,1] neg_hi:[0,1]
	v_mbcnt_hi_u32_b32 v3, -1, v3
	v_and_b32_e32 v5, 64, v3
	v_add_u32_e32 v7, 64, v5
	v_xor_b32_e32 v5, 1, v3
	v_cmp_lt_i32_e64 s[0:1], v5, v7
	v_cndmask_b32_e64 v5, v3, v5, s[0:1]
	v_lshlrev_b32_e32 v13, 2, v5
	ds_bpermute_b32 v5, v13, v14
	v_pk_add_f32 v[20:21], v[8:9], v[10:11]
	v_pk_add_f32 v[10:11], v[10:11], v[8:9] neg_lo:[0,1] neg_hi:[0,1]
	ds_bpermute_b32 v8, v13, v2
	v_and_b32_e32 v6, 1, v0
	v_cmp_eq_u32_e64 s[0:1], 0, v6
	v_cndmask_b32_e64 v6, -v14, v14, s[0:1]
	s_waitcnt lgkmcnt(1)
	v_add_f32_e32 v14, v6, v5
	ds_bpermute_b32 v5, v13, v18
	v_cndmask_b32_e64 v2, -v2, v2, s[0:1]
	s_waitcnt lgkmcnt(1)
	v_add_f32_e32 v2, v2, v8
	ds_bpermute_b32 v8, v13, v20
	v_cndmask_b32_e64 v6, -v18, v18, s[0:1]
	s_waitcnt lgkmcnt(1)
	v_add_f32_e32 v6, v6, v5
	v_cndmask_b32_e64 v5, -v20, v20, s[0:1]
	ds_bpermute_b32 v11, v13, v12
	s_waitcnt lgkmcnt(1)
	v_add_f32_e32 v9, v5, v8
	ds_bpermute_b32 v5, v13, v16
	v_cndmask_b32_e64 v8, -v12, v12, s[0:1]
	ds_bpermute_b32 v12, v13, v4
	s_waitcnt lgkmcnt(2)
	v_add_f32_e32 v11, v8, v11
	v_cndmask_b32_e64 v8, -v16, v16, s[0:1]
	v_cndmask_b32_e64 v4, -v4, v4, s[0:1]
	s_waitcnt lgkmcnt(1)
	v_add_f32_e32 v8, v8, v5
	s_waitcnt lgkmcnt(0)
	v_add_f32_e32 v5, v4, v12
	v_xor_b32_e32 v12, 2, v3
	ds_bpermute_b32 v4, v13, v10
	v_cndmask_b32_e64 v10, -v10, v10, s[0:1]
	v_cmp_lt_i32_e64 s[0:1], v12, v7
	v_cndmask_b32_e64 v3, v3, v12, s[0:1]
	v_lshlrev_b32_e32 v16, 2, v3
	ds_bpermute_b32 v7, v16, v14
	v_and_b32_e32 v0, 2, v0
	v_cmp_eq_u32_e64 s[0:1], 0, v0
	s_waitcnt lgkmcnt(1)
	v_add_f32_e32 v3, v10, v4
	v_cndmask_b32_e64 v0, -v14, v14, s[0:1]
	s_waitcnt lgkmcnt(0)
	v_add_f32_e32 v0, v0, v7
	ds_bpermute_b32 v15, v16, v2
	ds_bpermute_b32 v14, v16, v6
	;; [unrolled: 1-line block ×7, first 2 shown]
	v_mul_f32_e32 v16, s10, v0
	s_mov_b32 s2, 0x7f800000
	v_and_b32_e32 v0, 0x7f800000, v16
	v_cmp_ne_u32_e64 s[2:3], s2, v0
                                        ; implicit-def: $vgpr0
	s_and_saveexec_b64 s[8:9], s[2:3]
	s_xor_b64 s[2:3], exec, s[8:9]
; %bb.3:
	v_bfe_u32 v0, v16, 16, 1
	s_movk_i32 s8, 0x7fff
	v_add3_u32 v0, v16, v0, s8
                                        ; implicit-def: $vgpr16
; %bb.4:
	s_andn2_saveexec_b64 s[8:9], s[2:3]
; %bb.5:
	v_mov_b32_e32 v0, 0
	v_or_b32_e32 v17, 0x10000, v16
	v_cmp_eq_u32_sdwa s[2:3], v16, v0 src0_sel:WORD_0 src1_sel:DWORD
	v_cndmask_b32_e64 v0, v17, v16, s[2:3]
; %bb.6:
	s_or_b64 exec, exec, s[8:9]
	v_cndmask_b32_e64 v2, -v2, v2, s[0:1]
	s_waitcnt lgkmcnt(6)
	v_add_f32_e32 v2, v2, v15
	v_mul_f32_e32 v15, s10, v2
	s_mov_b32 s2, 0x7f800000
	v_and_b32_e32 v2, 0x7f800000, v15
	v_cmp_ne_u32_e64 s[2:3], s2, v2
                                        ; implicit-def: $vgpr2
	s_and_saveexec_b64 s[8:9], s[2:3]
	s_xor_b64 s[2:3], exec, s[8:9]
; %bb.7:
	v_bfe_u32 v2, v15, 16, 1
	s_movk_i32 s8, 0x7fff
	v_add3_u32 v2, v15, v2, s8
                                        ; implicit-def: $vgpr15
; %bb.8:
	s_andn2_saveexec_b64 s[8:9], s[2:3]
; %bb.9:
	v_mov_b32_e32 v2, 0
	v_or_b32_e32 v16, 0x10000, v15
	v_cmp_eq_u32_sdwa s[2:3], v15, v2 src0_sel:WORD_0 src1_sel:DWORD
	v_cndmask_b32_e64 v2, v16, v15, s[2:3]
; %bb.10:
	s_or_b64 exec, exec, s[8:9]
	v_cndmask_b32_e64 v6, -v6, v6, s[0:1]
	s_waitcnt lgkmcnt(5)
	v_add_f32_e32 v6, v6, v14
	v_mul_f32_e32 v14, s10, v6
	s_mov_b32 s2, 0x7f800000
	v_and_b32_e32 v6, 0x7f800000, v14
	v_cmp_ne_u32_e64 s[2:3], s2, v6
                                        ; implicit-def: $vgpr6
	s_and_saveexec_b64 s[8:9], s[2:3]
	s_xor_b64 s[2:3], exec, s[8:9]
; %bb.11:
	v_bfe_u32 v6, v14, 16, 1
	s_movk_i32 s8, 0x7fff
	v_add3_u32 v6, v14, v6, s8
                                        ; implicit-def: $vgpr14
; %bb.12:
	s_andn2_saveexec_b64 s[8:9], s[2:3]
; %bb.13:
	v_mov_b32_e32 v6, 0
	v_or_b32_e32 v15, 0x10000, v14
	v_cmp_eq_u32_sdwa s[2:3], v14, v6 src0_sel:WORD_0 src1_sel:DWORD
	v_cndmask_b32_e64 v6, v15, v14, s[2:3]
; %bb.14:
	s_or_b64 exec, exec, s[8:9]
	v_cndmask_b32_e64 v9, -v9, v9, s[0:1]
	s_waitcnt lgkmcnt(4)
	v_add_f32_e32 v9, v9, v13
	v_mul_f32_e32 v13, s10, v9
	s_mov_b32 s2, 0x7f800000
	v_and_b32_e32 v9, 0x7f800000, v13
	v_cmp_ne_u32_e64 s[2:3], s2, v9
                                        ; implicit-def: $vgpr9
	s_and_saveexec_b64 s[8:9], s[2:3]
	s_xor_b64 s[2:3], exec, s[8:9]
; %bb.15:
	v_bfe_u32 v9, v13, 16, 1
	s_movk_i32 s8, 0x7fff
	v_add3_u32 v9, v13, v9, s8
                                        ; implicit-def: $vgpr13
; %bb.16:
	s_andn2_saveexec_b64 s[8:9], s[2:3]
; %bb.17:
	v_mov_b32_e32 v9, 0
	v_or_b32_e32 v14, 0x10000, v13
	v_cmp_eq_u32_sdwa s[2:3], v13, v9 src0_sel:WORD_0 src1_sel:DWORD
	v_cndmask_b32_e64 v9, v14, v13, s[2:3]
; %bb.18:
	s_or_b64 exec, exec, s[8:9]
	v_cndmask_b32_e64 v11, -v11, v11, s[0:1]
	s_waitcnt lgkmcnt(3)
	v_add_f32_e32 v11, v11, v12
	v_mul_f32_e32 v12, s10, v11
	s_mov_b32 s2, 0x7f800000
	v_and_b32_e32 v11, 0x7f800000, v12
	v_cmp_ne_u32_e64 s[2:3], s2, v11
                                        ; implicit-def: $vgpr11
	s_and_saveexec_b64 s[8:9], s[2:3]
	s_xor_b64 s[2:3], exec, s[8:9]
; %bb.19:
	v_bfe_u32 v11, v12, 16, 1
	s_movk_i32 s8, 0x7fff
	v_add3_u32 v11, v12, v11, s8
                                        ; implicit-def: $vgpr12
; %bb.20:
	s_andn2_saveexec_b64 s[8:9], s[2:3]
; %bb.21:
	v_mov_b32_e32 v11, 0
	v_or_b32_e32 v13, 0x10000, v12
	v_cmp_eq_u32_sdwa s[2:3], v12, v11 src0_sel:WORD_0 src1_sel:DWORD
	v_cndmask_b32_e64 v11, v13, v12, s[2:3]
; %bb.22:
	s_or_b64 exec, exec, s[8:9]
	v_cndmask_b32_e64 v8, -v8, v8, s[0:1]
	s_waitcnt lgkmcnt(2)
	v_add_f32_e32 v8, v8, v10
	v_mul_f32_e32 v10, s10, v8
	s_mov_b32 s2, 0x7f800000
	v_and_b32_e32 v8, 0x7f800000, v10
	v_cmp_ne_u32_e64 s[2:3], s2, v8
                                        ; implicit-def: $vgpr8
	s_and_saveexec_b64 s[8:9], s[2:3]
	s_xor_b64 s[2:3], exec, s[8:9]
; %bb.23:
	v_bfe_u32 v8, v10, 16, 1
	s_movk_i32 s8, 0x7fff
	v_add3_u32 v8, v10, v8, s8
                                        ; implicit-def: $vgpr10
; %bb.24:
	s_andn2_saveexec_b64 s[8:9], s[2:3]
; %bb.25:
	v_mov_b32_e32 v8, 0
	v_or_b32_e32 v12, 0x10000, v10
	v_cmp_eq_u32_sdwa s[2:3], v10, v8 src0_sel:WORD_0 src1_sel:DWORD
	v_cndmask_b32_e64 v8, v12, v10, s[2:3]
; %bb.26:
	s_or_b64 exec, exec, s[8:9]
	v_cndmask_b32_e64 v5, -v5, v5, s[0:1]
	s_waitcnt lgkmcnt(1)
	v_add_f32_e32 v5, v5, v7
	v_mul_f32_e32 v7, s10, v5
	s_mov_b32 s2, 0x7f800000
	v_and_b32_e32 v5, 0x7f800000, v7
	v_cmp_ne_u32_e64 s[2:3], s2, v5
                                        ; implicit-def: $vgpr5
	s_and_saveexec_b64 s[8:9], s[2:3]
	s_xor_b64 s[2:3], exec, s[8:9]
; %bb.27:
	v_bfe_u32 v5, v7, 16, 1
	s_movk_i32 s8, 0x7fff
	v_add3_u32 v5, v7, v5, s8
                                        ; implicit-def: $vgpr7
; %bb.28:
	s_andn2_saveexec_b64 s[8:9], s[2:3]
; %bb.29:
	v_mov_b32_e32 v5, 0
	v_or_b32_e32 v10, 0x10000, v7
	v_cmp_eq_u32_sdwa s[2:3], v7, v5 src0_sel:WORD_0 src1_sel:DWORD
	v_cndmask_b32_e64 v5, v10, v7, s[2:3]
; %bb.30:
	s_or_b64 exec, exec, s[8:9]
	v_cndmask_b32_e64 v3, -v3, v3, s[0:1]
	s_waitcnt lgkmcnt(0)
	v_add_f32_e32 v3, v3, v4
	v_mul_f32_e32 v4, s10, v3
	s_mov_b32 s0, 0x7f800000
	v_and_b32_e32 v3, 0x7f800000, v4
	v_cmp_ne_u32_e64 s[0:1], s0, v3
                                        ; implicit-def: $vgpr3
	s_and_saveexec_b64 s[2:3], s[0:1]
	s_xor_b64 s[0:1], exec, s[2:3]
	s_cbranch_execnz .LBB28_34
; %bb.31:
	s_andn2_saveexec_b64 s[2:3], s[0:1]
	s_cbranch_execnz .LBB28_35
.LBB28_32:
	s_or_b64 exec, exec, s[2:3]
	s_and_saveexec_b64 s[0:1], vcc
	s_cbranch_execnz .LBB28_36
.LBB28_33:
	s_endpgm
.LBB28_34:
	v_bfe_u32 v3, v4, 16, 1
	s_movk_i32 s2, 0x7fff
	v_add3_u32 v3, v4, v3, s2
                                        ; implicit-def: $vgpr4
	s_andn2_saveexec_b64 s[2:3], s[0:1]
	s_cbranch_execz .LBB28_32
.LBB28_35:
	v_mov_b32_e32 v3, 0
	v_or_b32_e32 v7, 0x10000, v4
	v_cmp_eq_u32_sdwa s[0:1], v4, v3 src0_sel:WORD_0 src1_sel:DWORD
	v_cndmask_b32_e64 v3, v7, v4, s[0:1]
	s_or_b64 exec, exec, s[2:3]
	s_and_saveexec_b64 s[0:1], vcc
	s_cbranch_execz .LBB28_33
.LBB28_36:
	s_load_dwordx2 s[0:1], s[4:5], 0x18
	s_load_dwordx2 s[2:3], s[4:5], 0x30
	s_waitcnt lgkmcnt(0)
	s_mul_i32 s4, s0, s7
	s_mul_hi_u32 s5, s0, s6
	s_mul_i32 s1, s1, s6
	s_add_i32 s4, s5, s4
	s_mul_i32 s0, s0, s6
	s_add_i32 s1, s4, s1
	s_lshl_b64 s[0:1], s[0:1], 1
	s_add_u32 s0, s2, s0
	s_mov_b32 s2, 0x7060302
	s_addc_u32 s1, s3, s1
	v_perm_b32 v5, v3, v5, s2
	v_perm_b32 v4, v8, v11, s2
	v_perm_b32 v3, v9, v6, s2
	v_perm_b32 v2, v2, v0, s2
	global_store_dwordx4 v1, v[2:5], s[0:1]
	s_endpgm
	.section	.rodata,"a",@progbits
	.p2align	6, 0x0
	.amdhsa_kernel _Z30fast_hadamard_transform_kernelI37fast_hadamard_transform_kernel_traitsILi4ELi5E14__hip_bfloat16EEv18HadamardParamsBase
		.amdhsa_group_segment_fixed_size 0
		.amdhsa_private_segment_fixed_size 0
		.amdhsa_kernarg_size 56
		.amdhsa_user_sgpr_count 6
		.amdhsa_user_sgpr_private_segment_buffer 1
		.amdhsa_user_sgpr_dispatch_ptr 0
		.amdhsa_user_sgpr_queue_ptr 0
		.amdhsa_user_sgpr_kernarg_segment_ptr 1
		.amdhsa_user_sgpr_dispatch_id 0
		.amdhsa_user_sgpr_flat_scratch_init 0
		.amdhsa_user_sgpr_kernarg_preload_length 0
		.amdhsa_user_sgpr_kernarg_preload_offset 0
		.amdhsa_user_sgpr_private_segment_size 0
		.amdhsa_uses_dynamic_stack 0
		.amdhsa_system_sgpr_private_segment_wavefront_offset 0
		.amdhsa_system_sgpr_workgroup_id_x 1
		.amdhsa_system_sgpr_workgroup_id_y 0
		.amdhsa_system_sgpr_workgroup_id_z 0
		.amdhsa_system_sgpr_workgroup_info 0
		.amdhsa_system_vgpr_workitem_id 0
		.amdhsa_next_free_vgpr 22
		.amdhsa_next_free_sgpr 13
		.amdhsa_accum_offset 24
		.amdhsa_reserve_vcc 1
		.amdhsa_reserve_flat_scratch 0
		.amdhsa_float_round_mode_32 0
		.amdhsa_float_round_mode_16_64 0
		.amdhsa_float_denorm_mode_32 3
		.amdhsa_float_denorm_mode_16_64 3
		.amdhsa_dx10_clamp 1
		.amdhsa_ieee_mode 1
		.amdhsa_fp16_overflow 0
		.amdhsa_tg_split 0
		.amdhsa_exception_fp_ieee_invalid_op 0
		.amdhsa_exception_fp_denorm_src 0
		.amdhsa_exception_fp_ieee_div_zero 0
		.amdhsa_exception_fp_ieee_overflow 0
		.amdhsa_exception_fp_ieee_underflow 0
		.amdhsa_exception_fp_ieee_inexact 0
		.amdhsa_exception_int_div_zero 0
	.end_amdhsa_kernel
	.section	.text._Z30fast_hadamard_transform_kernelI37fast_hadamard_transform_kernel_traitsILi4ELi5E14__hip_bfloat16EEv18HadamardParamsBase,"axG",@progbits,_Z30fast_hadamard_transform_kernelI37fast_hadamard_transform_kernel_traitsILi4ELi5E14__hip_bfloat16EEv18HadamardParamsBase,comdat
.Lfunc_end28:
	.size	_Z30fast_hadamard_transform_kernelI37fast_hadamard_transform_kernel_traitsILi4ELi5E14__hip_bfloat16EEv18HadamardParamsBase, .Lfunc_end28-_Z30fast_hadamard_transform_kernelI37fast_hadamard_transform_kernel_traitsILi4ELi5E14__hip_bfloat16EEv18HadamardParamsBase
                                        ; -- End function
	.section	.AMDGPU.csdata,"",@progbits
; Kernel info:
; codeLenInByte = 1768
; NumSgprs: 17
; NumVgprs: 22
; NumAgprs: 0
; TotalNumVgprs: 22
; ScratchSize: 0
; MemoryBound: 0
; FloatMode: 240
; IeeeMode: 1
; LDSByteSize: 0 bytes/workgroup (compile time only)
; SGPRBlocks: 2
; VGPRBlocks: 2
; NumSGPRsForWavesPerEU: 17
; NumVGPRsForWavesPerEU: 22
; AccumOffset: 24
; Occupancy: 8
; WaveLimiterHint : 0
; COMPUTE_PGM_RSRC2:SCRATCH_EN: 0
; COMPUTE_PGM_RSRC2:USER_SGPR: 6
; COMPUTE_PGM_RSRC2:TRAP_HANDLER: 0
; COMPUTE_PGM_RSRC2:TGID_X_EN: 1
; COMPUTE_PGM_RSRC2:TGID_Y_EN: 0
; COMPUTE_PGM_RSRC2:TGID_Z_EN: 0
; COMPUTE_PGM_RSRC2:TIDIG_COMP_CNT: 0
; COMPUTE_PGM_RSRC3_GFX90A:ACCUM_OFFSET: 5
; COMPUTE_PGM_RSRC3_GFX90A:TG_SPLIT: 0
	.section	.text._Z30fast_hadamard_transform_kernelI37fast_hadamard_transform_kernel_traitsILi8ELi6E14__hip_bfloat16EEv18HadamardParamsBase,"axG",@progbits,_Z30fast_hadamard_transform_kernelI37fast_hadamard_transform_kernel_traitsILi8ELi6E14__hip_bfloat16EEv18HadamardParamsBase,comdat
	.protected	_Z30fast_hadamard_transform_kernelI37fast_hadamard_transform_kernel_traitsILi8ELi6E14__hip_bfloat16EEv18HadamardParamsBase ; -- Begin function _Z30fast_hadamard_transform_kernelI37fast_hadamard_transform_kernel_traitsILi8ELi6E14__hip_bfloat16EEv18HadamardParamsBase
	.globl	_Z30fast_hadamard_transform_kernelI37fast_hadamard_transform_kernel_traitsILi8ELi6E14__hip_bfloat16EEv18HadamardParamsBase
	.p2align	8
	.type	_Z30fast_hadamard_transform_kernelI37fast_hadamard_transform_kernel_traitsILi8ELi6E14__hip_bfloat16EEv18HadamardParamsBase,@function
_Z30fast_hadamard_transform_kernelI37fast_hadamard_transform_kernel_traitsILi8ELi6E14__hip_bfloat16EEv18HadamardParamsBase: ; @_Z30fast_hadamard_transform_kernelI37fast_hadamard_transform_kernel_traitsILi8ELi6E14__hip_bfloat16EEv18HadamardParamsBase
; %bb.0:
	s_load_dword s0, s[4:5], 0x4
	s_load_dword s10, s[4:5], 0x20
	v_lshlrev_b32_e32 v1, 3, v0
	v_mov_b32_e32 v2, 0
	s_ashr_i32 s7, s6, 31
	s_waitcnt lgkmcnt(0)
	v_cmp_gt_u32_e32 vcc, s0, v1
	v_lshlrev_b32_e32 v1, 4, v0
	v_mov_b32_e32 v3, v2
	v_mov_b32_e32 v6, v2
	;; [unrolled: 1-line block ×7, first 2 shown]
	s_and_saveexec_b64 s[0:1], vcc
	s_cbranch_execz .LBB29_2
; %bb.1:
	s_load_dwordx2 s[2:3], s[4:5], 0x10
	s_load_dwordx2 s[8:9], s[4:5], 0x28
	s_waitcnt lgkmcnt(0)
	s_mul_i32 s11, s2, s7
	s_mul_hi_u32 s12, s2, s6
	s_mul_i32 s3, s3, s6
	s_add_i32 s11, s12, s11
	s_mul_i32 s2, s2, s6
	s_add_i32 s3, s11, s3
	s_lshl_b64 s[2:3], s[2:3], 1
	s_add_u32 s2, s8, s2
	s_addc_u32 s3, s9, s3
	global_load_dwordx4 v[10:13], v1, s[2:3]
	s_waitcnt vmcnt(0)
	v_and_b32_e32 v9, 0xffff0000, v10
	v_lshlrev_b32_e32 v8, 16, v10
	v_and_b32_e32 v5, 0xffff0000, v11
	v_lshlrev_b32_e32 v4, 16, v11
	;; [unrolled: 2-line block ×4, first 2 shown]
.LBB29_2:
	s_or_b64 exec, exec, s[0:1]
	v_mov_b32_e32 v10, v9
	v_mov_b32_e32 v12, v5
	v_pk_add_f32 v[10:11], v[8:9], v[10:11] op_sel_hi:[1,0] neg_lo:[0,1] neg_hi:[0,1]
	v_pk_add_f32 v[12:13], v[4:5], v[12:13] op_sel_hi:[1,0] neg_lo:[0,1] neg_hi:[0,1]
	v_mov_b32_e32 v14, v7
	v_mov_b32_e32 v16, v3
	v_pk_add_f32 v[14:15], v[6:7], v[14:15] op_sel_hi:[1,0] neg_lo:[0,1] neg_hi:[0,1]
	v_pk_add_f32 v[16:17], v[2:3], v[16:17] op_sel_hi:[1,0] neg_lo:[0,1] neg_hi:[0,1]
	v_pk_add_f32 v[18:19], v[12:13], v[10:11]
	v_pk_add_f32 v[10:11], v[10:11], v[12:13] neg_lo:[0,1] neg_hi:[0,1]
	v_mov_b32_e32 v12, v7
	v_mov_b32_e32 v13, v9
	;; [unrolled: 1-line block ×6, first 2 shown]
	v_pk_add_f32 v[6:7], v[12:13], v[6:7]
	v_pk_add_f32 v[2:3], v[8:9], v[2:3]
	v_pk_add_f32 v[4:5], v[6:7], v[2:3] neg_lo:[0,1] neg_hi:[0,1]
	v_pk_add_f32 v[2:3], v[2:3], v[6:7]
	v_mov_b32_e32 v12, v3
	v_pk_add_f32 v[6:7], v[16:17], v[14:15]
	v_pk_add_f32 v[8:9], v[14:15], v[16:17] neg_lo:[0,1] neg_hi:[0,1]
	v_pk_add_f32 v[14:15], v[2:3], v[12:13]
	v_pk_add_f32 v[2:3], v[12:13], v[2:3] neg_lo:[0,1] neg_hi:[0,1]
	v_mov_b32_e32 v16, v5
	v_mbcnt_lo_u32_b32 v3, -1, 0
	v_pk_add_f32 v[12:13], v[6:7], v[18:19]
	v_pk_add_f32 v[6:7], v[18:19], v[6:7] neg_lo:[0,1] neg_hi:[0,1]
	v_pk_add_f32 v[18:19], v[4:5], v[16:17]
	v_pk_add_f32 v[4:5], v[16:17], v[4:5] neg_lo:[0,1] neg_hi:[0,1]
	v_mbcnt_hi_u32_b32 v3, -1, v3
	v_and_b32_e32 v5, 64, v3
	v_add_u32_e32 v7, 64, v5
	v_xor_b32_e32 v5, 1, v3
	v_cmp_lt_i32_e64 s[0:1], v5, v7
	v_cndmask_b32_e64 v5, v3, v5, s[0:1]
	v_pk_add_f32 v[16:17], v[8:9], v[10:11]
	v_pk_add_f32 v[8:9], v[10:11], v[8:9] neg_lo:[0,1] neg_hi:[0,1]
	v_lshlrev_b32_e32 v5, 2, v5
	ds_bpermute_b32 v9, v5, v14
	v_and_b32_e32 v10, 1, v0
	v_cmp_eq_u32_e64 s[0:1], 0, v10
	v_cndmask_b32_e64 v10, -v14, v14, s[0:1]
	ds_bpermute_b32 v11, v5, v12
	s_waitcnt lgkmcnt(1)
	v_add_f32_e32 v9, v10, v9
	ds_bpermute_b32 v10, v5, v18
	v_cndmask_b32_e64 v13, -v18, v18, s[0:1]
	v_cndmask_b32_e64 v12, -v12, v12, s[0:1]
	s_waitcnt lgkmcnt(1)
	v_add_f32_e32 v11, v12, v11
	ds_bpermute_b32 v12, v5, v16
	s_waitcnt lgkmcnt(1)
	v_add_f32_e32 v10, v13, v10
	ds_bpermute_b32 v13, v5, v2
	v_cndmask_b32_e64 v2, -v2, v2, s[0:1]
	v_cndmask_b32_e64 v14, -v16, v16, s[0:1]
	s_waitcnt lgkmcnt(1)
	v_add_f32_e32 v12, v14, v12
	ds_bpermute_b32 v14, v5, v6
	s_waitcnt lgkmcnt(1)
	v_add_f32_e32 v13, v2, v13
	ds_bpermute_b32 v2, v5, v4
	ds_bpermute_b32 v5, v5, v8
	v_cndmask_b32_e64 v4, -v4, v4, s[0:1]
	v_cndmask_b32_e64 v6, -v6, v6, s[0:1]
	s_waitcnt lgkmcnt(2)
	v_add_f32_e32 v14, v6, v14
	s_waitcnt lgkmcnt(1)
	v_add_f32_e32 v4, v4, v2
	v_cndmask_b32_e64 v2, -v8, v8, s[0:1]
	s_waitcnt lgkmcnt(0)
	v_add_f32_e32 v15, v2, v5
	v_xor_b32_e32 v2, 2, v3
	v_cmp_lt_i32_e64 s[0:1], v2, v7
	v_cndmask_b32_e64 v2, v3, v2, s[0:1]
	v_lshlrev_b32_e32 v16, 2, v2
	ds_bpermute_b32 v2, v16, v9
	v_and_b32_e32 v5, 2, v0
	v_cmp_eq_u32_e64 s[0:1], 0, v5
	ds_bpermute_b32 v6, v16, v11
	v_cndmask_b32_e64 v5, -v9, v9, s[0:1]
	s_waitcnt lgkmcnt(1)
	v_add_f32_e32 v17, v5, v2
	ds_bpermute_b32 v5, v16, v10
	ds_bpermute_b32 v8, v16, v12
	v_cndmask_b32_e64 v2, -v11, v11, s[0:1]
	s_waitcnt lgkmcnt(2)
	v_add_f32_e32 v2, v2, v6
	v_cndmask_b32_e64 v6, -v10, v10, s[0:1]
	s_waitcnt lgkmcnt(1)
	v_add_f32_e32 v6, v6, v5
	v_cndmask_b32_e64 v5, -v12, v12, s[0:1]
	ds_bpermute_b32 v10, v16, v13
	s_waitcnt lgkmcnt(1)
	v_add_f32_e32 v9, v5, v8
	ds_bpermute_b32 v5, v16, v14
	ds_bpermute_b32 v12, v16, v4
	v_cndmask_b32_e64 v8, -v13, v13, s[0:1]
	s_waitcnt lgkmcnt(2)
	v_add_f32_e32 v11, v8, v10
	v_cndmask_b32_e64 v8, -v14, v14, s[0:1]
	v_cndmask_b32_e64 v4, -v4, v4, s[0:1]
	s_waitcnt lgkmcnt(1)
	v_add_f32_e32 v8, v8, v5
	s_waitcnt lgkmcnt(0)
	v_add_f32_e32 v5, v4, v12
	v_xor_b32_e32 v12, 4, v3
	v_cndmask_b32_e64 v10, -v15, v15, s[0:1]
	v_cmp_lt_i32_e64 s[0:1], v12, v7
	v_cndmask_b32_e64 v3, v3, v12, s[0:1]
	ds_bpermute_b32 v4, v16, v15
	v_lshlrev_b32_e32 v16, 2, v3
	ds_bpermute_b32 v7, v16, v17
	v_and_b32_e32 v0, 4, v0
	v_cmp_eq_u32_e64 s[0:1], 0, v0
	s_waitcnt lgkmcnt(1)
	v_add_f32_e32 v3, v10, v4
	v_cndmask_b32_e64 v0, -v17, v17, s[0:1]
	s_waitcnt lgkmcnt(0)
	v_add_f32_e32 v0, v0, v7
	ds_bpermute_b32 v15, v16, v2
	ds_bpermute_b32 v14, v16, v6
	;; [unrolled: 1-line block ×7, first 2 shown]
	v_mul_f32_e32 v16, s10, v0
	s_mov_b32 s2, 0x7f800000
	v_and_b32_e32 v0, 0x7f800000, v16
	v_cmp_ne_u32_e64 s[2:3], s2, v0
                                        ; implicit-def: $vgpr0
	s_and_saveexec_b64 s[8:9], s[2:3]
	s_xor_b64 s[2:3], exec, s[8:9]
; %bb.3:
	v_bfe_u32 v0, v16, 16, 1
	s_movk_i32 s8, 0x7fff
	v_add3_u32 v0, v16, v0, s8
                                        ; implicit-def: $vgpr16
; %bb.4:
	s_andn2_saveexec_b64 s[8:9], s[2:3]
; %bb.5:
	v_mov_b32_e32 v0, 0
	v_or_b32_e32 v17, 0x10000, v16
	v_cmp_eq_u32_sdwa s[2:3], v16, v0 src0_sel:WORD_0 src1_sel:DWORD
	v_cndmask_b32_e64 v0, v17, v16, s[2:3]
; %bb.6:
	s_or_b64 exec, exec, s[8:9]
	v_cndmask_b32_e64 v2, -v2, v2, s[0:1]
	s_waitcnt lgkmcnt(6)
	v_add_f32_e32 v2, v2, v15
	v_mul_f32_e32 v15, s10, v2
	s_mov_b32 s2, 0x7f800000
	v_and_b32_e32 v2, 0x7f800000, v15
	v_cmp_ne_u32_e64 s[2:3], s2, v2
                                        ; implicit-def: $vgpr2
	s_and_saveexec_b64 s[8:9], s[2:3]
	s_xor_b64 s[2:3], exec, s[8:9]
; %bb.7:
	v_bfe_u32 v2, v15, 16, 1
	s_movk_i32 s8, 0x7fff
	v_add3_u32 v2, v15, v2, s8
                                        ; implicit-def: $vgpr15
; %bb.8:
	s_andn2_saveexec_b64 s[8:9], s[2:3]
; %bb.9:
	v_mov_b32_e32 v2, 0
	v_or_b32_e32 v16, 0x10000, v15
	v_cmp_eq_u32_sdwa s[2:3], v15, v2 src0_sel:WORD_0 src1_sel:DWORD
	v_cndmask_b32_e64 v2, v16, v15, s[2:3]
; %bb.10:
	s_or_b64 exec, exec, s[8:9]
	v_cndmask_b32_e64 v6, -v6, v6, s[0:1]
	s_waitcnt lgkmcnt(5)
	v_add_f32_e32 v6, v6, v14
	v_mul_f32_e32 v14, s10, v6
	s_mov_b32 s2, 0x7f800000
	v_and_b32_e32 v6, 0x7f800000, v14
	v_cmp_ne_u32_e64 s[2:3], s2, v6
                                        ; implicit-def: $vgpr6
	s_and_saveexec_b64 s[8:9], s[2:3]
	s_xor_b64 s[2:3], exec, s[8:9]
; %bb.11:
	v_bfe_u32 v6, v14, 16, 1
	s_movk_i32 s8, 0x7fff
	v_add3_u32 v6, v14, v6, s8
                                        ; implicit-def: $vgpr14
; %bb.12:
	s_andn2_saveexec_b64 s[8:9], s[2:3]
; %bb.13:
	v_mov_b32_e32 v6, 0
	v_or_b32_e32 v15, 0x10000, v14
	v_cmp_eq_u32_sdwa s[2:3], v14, v6 src0_sel:WORD_0 src1_sel:DWORD
	v_cndmask_b32_e64 v6, v15, v14, s[2:3]
; %bb.14:
	s_or_b64 exec, exec, s[8:9]
	v_cndmask_b32_e64 v9, -v9, v9, s[0:1]
	s_waitcnt lgkmcnt(4)
	v_add_f32_e32 v9, v9, v13
	v_mul_f32_e32 v13, s10, v9
	s_mov_b32 s2, 0x7f800000
	v_and_b32_e32 v9, 0x7f800000, v13
	v_cmp_ne_u32_e64 s[2:3], s2, v9
                                        ; implicit-def: $vgpr9
	s_and_saveexec_b64 s[8:9], s[2:3]
	s_xor_b64 s[2:3], exec, s[8:9]
; %bb.15:
	v_bfe_u32 v9, v13, 16, 1
	s_movk_i32 s8, 0x7fff
	v_add3_u32 v9, v13, v9, s8
                                        ; implicit-def: $vgpr13
; %bb.16:
	s_andn2_saveexec_b64 s[8:9], s[2:3]
; %bb.17:
	v_mov_b32_e32 v9, 0
	v_or_b32_e32 v14, 0x10000, v13
	v_cmp_eq_u32_sdwa s[2:3], v13, v9 src0_sel:WORD_0 src1_sel:DWORD
	v_cndmask_b32_e64 v9, v14, v13, s[2:3]
; %bb.18:
	s_or_b64 exec, exec, s[8:9]
	v_cndmask_b32_e64 v11, -v11, v11, s[0:1]
	s_waitcnt lgkmcnt(3)
	v_add_f32_e32 v11, v11, v12
	v_mul_f32_e32 v12, s10, v11
	s_mov_b32 s2, 0x7f800000
	v_and_b32_e32 v11, 0x7f800000, v12
	v_cmp_ne_u32_e64 s[2:3], s2, v11
                                        ; implicit-def: $vgpr11
	s_and_saveexec_b64 s[8:9], s[2:3]
	s_xor_b64 s[2:3], exec, s[8:9]
; %bb.19:
	v_bfe_u32 v11, v12, 16, 1
	s_movk_i32 s8, 0x7fff
	v_add3_u32 v11, v12, v11, s8
                                        ; implicit-def: $vgpr12
; %bb.20:
	s_andn2_saveexec_b64 s[8:9], s[2:3]
; %bb.21:
	v_mov_b32_e32 v11, 0
	v_or_b32_e32 v13, 0x10000, v12
	v_cmp_eq_u32_sdwa s[2:3], v12, v11 src0_sel:WORD_0 src1_sel:DWORD
	v_cndmask_b32_e64 v11, v13, v12, s[2:3]
; %bb.22:
	s_or_b64 exec, exec, s[8:9]
	v_cndmask_b32_e64 v8, -v8, v8, s[0:1]
	s_waitcnt lgkmcnt(2)
	v_add_f32_e32 v8, v8, v10
	v_mul_f32_e32 v10, s10, v8
	s_mov_b32 s2, 0x7f800000
	v_and_b32_e32 v8, 0x7f800000, v10
	v_cmp_ne_u32_e64 s[2:3], s2, v8
                                        ; implicit-def: $vgpr8
	s_and_saveexec_b64 s[8:9], s[2:3]
	s_xor_b64 s[2:3], exec, s[8:9]
; %bb.23:
	v_bfe_u32 v8, v10, 16, 1
	s_movk_i32 s8, 0x7fff
	v_add3_u32 v8, v10, v8, s8
                                        ; implicit-def: $vgpr10
; %bb.24:
	s_andn2_saveexec_b64 s[8:9], s[2:3]
; %bb.25:
	v_mov_b32_e32 v8, 0
	v_or_b32_e32 v12, 0x10000, v10
	v_cmp_eq_u32_sdwa s[2:3], v10, v8 src0_sel:WORD_0 src1_sel:DWORD
	v_cndmask_b32_e64 v8, v12, v10, s[2:3]
; %bb.26:
	s_or_b64 exec, exec, s[8:9]
	v_cndmask_b32_e64 v5, -v5, v5, s[0:1]
	s_waitcnt lgkmcnt(1)
	v_add_f32_e32 v5, v5, v7
	v_mul_f32_e32 v7, s10, v5
	s_mov_b32 s2, 0x7f800000
	v_and_b32_e32 v5, 0x7f800000, v7
	v_cmp_ne_u32_e64 s[2:3], s2, v5
                                        ; implicit-def: $vgpr5
	s_and_saveexec_b64 s[8:9], s[2:3]
	s_xor_b64 s[2:3], exec, s[8:9]
; %bb.27:
	v_bfe_u32 v5, v7, 16, 1
	s_movk_i32 s8, 0x7fff
	v_add3_u32 v5, v7, v5, s8
                                        ; implicit-def: $vgpr7
; %bb.28:
	s_andn2_saveexec_b64 s[8:9], s[2:3]
; %bb.29:
	v_mov_b32_e32 v5, 0
	v_or_b32_e32 v10, 0x10000, v7
	v_cmp_eq_u32_sdwa s[2:3], v7, v5 src0_sel:WORD_0 src1_sel:DWORD
	v_cndmask_b32_e64 v5, v10, v7, s[2:3]
; %bb.30:
	s_or_b64 exec, exec, s[8:9]
	v_cndmask_b32_e64 v3, -v3, v3, s[0:1]
	s_waitcnt lgkmcnt(0)
	v_add_f32_e32 v3, v3, v4
	v_mul_f32_e32 v4, s10, v3
	s_mov_b32 s0, 0x7f800000
	v_and_b32_e32 v3, 0x7f800000, v4
	v_cmp_ne_u32_e64 s[0:1], s0, v3
                                        ; implicit-def: $vgpr3
	s_and_saveexec_b64 s[2:3], s[0:1]
	s_xor_b64 s[0:1], exec, s[2:3]
	s_cbranch_execnz .LBB29_34
; %bb.31:
	s_andn2_saveexec_b64 s[2:3], s[0:1]
	s_cbranch_execnz .LBB29_35
.LBB29_32:
	s_or_b64 exec, exec, s[2:3]
	s_and_saveexec_b64 s[0:1], vcc
	s_cbranch_execnz .LBB29_36
.LBB29_33:
	s_endpgm
.LBB29_34:
	v_bfe_u32 v3, v4, 16, 1
	s_movk_i32 s2, 0x7fff
	v_add3_u32 v3, v4, v3, s2
                                        ; implicit-def: $vgpr4
	s_andn2_saveexec_b64 s[2:3], s[0:1]
	s_cbranch_execz .LBB29_32
.LBB29_35:
	v_mov_b32_e32 v3, 0
	v_or_b32_e32 v7, 0x10000, v4
	v_cmp_eq_u32_sdwa s[0:1], v4, v3 src0_sel:WORD_0 src1_sel:DWORD
	v_cndmask_b32_e64 v3, v7, v4, s[0:1]
	s_or_b64 exec, exec, s[2:3]
	s_and_saveexec_b64 s[0:1], vcc
	s_cbranch_execz .LBB29_33
.LBB29_36:
	s_load_dwordx2 s[0:1], s[4:5], 0x18
	s_load_dwordx2 s[2:3], s[4:5], 0x30
	s_waitcnt lgkmcnt(0)
	s_mul_i32 s4, s0, s7
	s_mul_hi_u32 s5, s0, s6
	s_mul_i32 s1, s1, s6
	s_add_i32 s4, s5, s4
	s_mul_i32 s0, s0, s6
	s_add_i32 s1, s4, s1
	s_lshl_b64 s[0:1], s[0:1], 1
	s_add_u32 s0, s2, s0
	s_mov_b32 s2, 0x7060302
	s_addc_u32 s1, s3, s1
	v_perm_b32 v5, v3, v5, s2
	v_perm_b32 v4, v8, v11, s2
	;; [unrolled: 1-line block ×4, first 2 shown]
	global_store_dwordx4 v1, v[2:5], s[0:1]
	s_endpgm
	.section	.rodata,"a",@progbits
	.p2align	6, 0x0
	.amdhsa_kernel _Z30fast_hadamard_transform_kernelI37fast_hadamard_transform_kernel_traitsILi8ELi6E14__hip_bfloat16EEv18HadamardParamsBase
		.amdhsa_group_segment_fixed_size 0
		.amdhsa_private_segment_fixed_size 0
		.amdhsa_kernarg_size 56
		.amdhsa_user_sgpr_count 6
		.amdhsa_user_sgpr_private_segment_buffer 1
		.amdhsa_user_sgpr_dispatch_ptr 0
		.amdhsa_user_sgpr_queue_ptr 0
		.amdhsa_user_sgpr_kernarg_segment_ptr 1
		.amdhsa_user_sgpr_dispatch_id 0
		.amdhsa_user_sgpr_flat_scratch_init 0
		.amdhsa_user_sgpr_kernarg_preload_length 0
		.amdhsa_user_sgpr_kernarg_preload_offset 0
		.amdhsa_user_sgpr_private_segment_size 0
		.amdhsa_uses_dynamic_stack 0
		.amdhsa_system_sgpr_private_segment_wavefront_offset 0
		.amdhsa_system_sgpr_workgroup_id_x 1
		.amdhsa_system_sgpr_workgroup_id_y 0
		.amdhsa_system_sgpr_workgroup_id_z 0
		.amdhsa_system_sgpr_workgroup_info 0
		.amdhsa_system_vgpr_workitem_id 0
		.amdhsa_next_free_vgpr 20
		.amdhsa_next_free_sgpr 13
		.amdhsa_accum_offset 20
		.amdhsa_reserve_vcc 1
		.amdhsa_reserve_flat_scratch 0
		.amdhsa_float_round_mode_32 0
		.amdhsa_float_round_mode_16_64 0
		.amdhsa_float_denorm_mode_32 3
		.amdhsa_float_denorm_mode_16_64 3
		.amdhsa_dx10_clamp 1
		.amdhsa_ieee_mode 1
		.amdhsa_fp16_overflow 0
		.amdhsa_tg_split 0
		.amdhsa_exception_fp_ieee_invalid_op 0
		.amdhsa_exception_fp_denorm_src 0
		.amdhsa_exception_fp_ieee_div_zero 0
		.amdhsa_exception_fp_ieee_overflow 0
		.amdhsa_exception_fp_ieee_underflow 0
		.amdhsa_exception_fp_ieee_inexact 0
		.amdhsa_exception_int_div_zero 0
	.end_amdhsa_kernel
	.section	.text._Z30fast_hadamard_transform_kernelI37fast_hadamard_transform_kernel_traitsILi8ELi6E14__hip_bfloat16EEv18HadamardParamsBase,"axG",@progbits,_Z30fast_hadamard_transform_kernelI37fast_hadamard_transform_kernel_traitsILi8ELi6E14__hip_bfloat16EEv18HadamardParamsBase,comdat
.Lfunc_end29:
	.size	_Z30fast_hadamard_transform_kernelI37fast_hadamard_transform_kernel_traitsILi8ELi6E14__hip_bfloat16EEv18HadamardParamsBase, .Lfunc_end29-_Z30fast_hadamard_transform_kernelI37fast_hadamard_transform_kernel_traitsILi8ELi6E14__hip_bfloat16EEv18HadamardParamsBase
                                        ; -- End function
	.section	.AMDGPU.csdata,"",@progbits
; Kernel info:
; codeLenInByte = 1996
; NumSgprs: 17
; NumVgprs: 20
; NumAgprs: 0
; TotalNumVgprs: 20
; ScratchSize: 0
; MemoryBound: 0
; FloatMode: 240
; IeeeMode: 1
; LDSByteSize: 0 bytes/workgroup (compile time only)
; SGPRBlocks: 2
; VGPRBlocks: 2
; NumSGPRsForWavesPerEU: 17
; NumVGPRsForWavesPerEU: 20
; AccumOffset: 20
; Occupancy: 8
; WaveLimiterHint : 0
; COMPUTE_PGM_RSRC2:SCRATCH_EN: 0
; COMPUTE_PGM_RSRC2:USER_SGPR: 6
; COMPUTE_PGM_RSRC2:TRAP_HANDLER: 0
; COMPUTE_PGM_RSRC2:TGID_X_EN: 1
; COMPUTE_PGM_RSRC2:TGID_Y_EN: 0
; COMPUTE_PGM_RSRC2:TGID_Z_EN: 0
; COMPUTE_PGM_RSRC2:TIDIG_COMP_CNT: 0
; COMPUTE_PGM_RSRC3_GFX90A:ACCUM_OFFSET: 4
; COMPUTE_PGM_RSRC3_GFX90A:TG_SPLIT: 0
	.section	.text._Z30fast_hadamard_transform_kernelI37fast_hadamard_transform_kernel_traitsILi16ELi7E14__hip_bfloat16EEv18HadamardParamsBase,"axG",@progbits,_Z30fast_hadamard_transform_kernelI37fast_hadamard_transform_kernel_traitsILi16ELi7E14__hip_bfloat16EEv18HadamardParamsBase,comdat
	.protected	_Z30fast_hadamard_transform_kernelI37fast_hadamard_transform_kernel_traitsILi16ELi7E14__hip_bfloat16EEv18HadamardParamsBase ; -- Begin function _Z30fast_hadamard_transform_kernelI37fast_hadamard_transform_kernel_traitsILi16ELi7E14__hip_bfloat16EEv18HadamardParamsBase
	.globl	_Z30fast_hadamard_transform_kernelI37fast_hadamard_transform_kernel_traitsILi16ELi7E14__hip_bfloat16EEv18HadamardParamsBase
	.p2align	8
	.type	_Z30fast_hadamard_transform_kernelI37fast_hadamard_transform_kernel_traitsILi16ELi7E14__hip_bfloat16EEv18HadamardParamsBase,@function
_Z30fast_hadamard_transform_kernelI37fast_hadamard_transform_kernel_traitsILi16ELi7E14__hip_bfloat16EEv18HadamardParamsBase: ; @_Z30fast_hadamard_transform_kernelI37fast_hadamard_transform_kernel_traitsILi16ELi7E14__hip_bfloat16EEv18HadamardParamsBase
; %bb.0:
	s_load_dword s0, s[4:5], 0x4
	s_load_dword s10, s[4:5], 0x20
	v_lshlrev_b32_e32 v1, 3, v0
	v_mov_b32_e32 v2, 0
	s_ashr_i32 s7, s6, 31
	s_waitcnt lgkmcnt(0)
	v_cmp_gt_u32_e32 vcc, s0, v1
	v_lshlrev_b32_e32 v1, 4, v0
	v_mov_b32_e32 v3, v2
	v_mov_b32_e32 v4, v2
	;; [unrolled: 1-line block ×7, first 2 shown]
	s_and_saveexec_b64 s[0:1], vcc
	s_cbranch_execz .LBB30_2
; %bb.1:
	s_load_dwordx2 s[2:3], s[4:5], 0x10
	s_load_dwordx2 s[8:9], s[4:5], 0x28
	s_waitcnt lgkmcnt(0)
	s_mul_i32 s11, s2, s7
	s_mul_hi_u32 s12, s2, s6
	s_mul_i32 s3, s3, s6
	s_add_i32 s11, s12, s11
	s_mul_i32 s2, s2, s6
	s_add_i32 s3, s11, s3
	s_lshl_b64 s[2:3], s[2:3], 1
	s_add_u32 s2, s8, s2
	s_addc_u32 s3, s9, s3
	global_load_dwordx4 v[10:13], v1, s[2:3]
	s_waitcnt vmcnt(0)
	v_and_b32_e32 v9, 0xffff0000, v10
	v_lshlrev_b32_e32 v8, 16, v10
	v_and_b32_e32 v7, 0xffff0000, v11
	v_lshlrev_b32_e32 v6, 16, v11
	;; [unrolled: 2-line block ×4, first 2 shown]
.LBB30_2:
	s_or_b64 exec, exec, s[0:1]
	v_mov_b32_e32 v10, v9
	v_pk_add_f32 v[12:13], v[10:11], v[8:9] op_sel_hi:[0,1]
	v_pk_add_f32 v[8:9], v[8:9], v[10:11] op_sel_hi:[1,0] neg_lo:[0,1] neg_hi:[0,1]
	v_mov_b32_e32 v10, v7
	v_pk_add_f32 v[14:15], v[10:11], v[6:7] op_sel_hi:[0,1]
	v_pk_add_f32 v[6:7], v[6:7], v[10:11] op_sel_hi:[1,0] neg_lo:[0,1] neg_hi:[0,1]
	;; [unrolled: 3-line block ×4, first 2 shown]
	v_pk_add_f32 v[10:11], v[14:15], v[12:13]
	v_pk_add_f32 v[12:13], v[12:13], v[14:15] neg_lo:[0,1] neg_hi:[0,1]
	v_pk_add_f32 v[14:15], v[6:7], v[8:9]
	v_pk_add_f32 v[6:7], v[8:9], v[6:7] neg_lo:[0,1] neg_hi:[0,1]
	v_pk_add_f32 v[8:9], v[18:19], v[16:17]
	v_pk_add_f32 v[16:17], v[16:17], v[18:19] neg_lo:[0,1] neg_hi:[0,1]
	v_pk_add_f32 v[18:19], v[2:3], v[4:5]
	v_pk_add_f32 v[2:3], v[4:5], v[2:3] neg_lo:[0,1] neg_hi:[0,1]
	v_pk_add_f32 v[4:5], v[8:9], v[10:11]
	v_pk_add_f32 v[8:9], v[10:11], v[8:9] neg_lo:[0,1] neg_hi:[0,1]
	v_pk_add_f32 v[10:11], v[18:19], v[14:15]
	v_pk_add_f32 v[14:15], v[14:15], v[18:19] neg_lo:[0,1] neg_hi:[0,1]
	v_pk_add_f32 v[18:19], v[16:17], v[12:13]
	v_pk_add_f32 v[12:13], v[12:13], v[16:17] neg_lo:[0,1] neg_hi:[0,1]
	v_pk_add_f32 v[16:17], v[2:3], v[6:7]
	v_pk_add_f32 v[2:3], v[6:7], v[2:3] neg_lo:[0,1] neg_hi:[0,1]
	v_mbcnt_lo_u32_b32 v3, -1, 0
	v_mbcnt_hi_u32_b32 v3, -1, v3
	v_and_b32_e32 v5, 64, v3
	v_add_u32_e32 v7, 64, v5
	v_xor_b32_e32 v5, 1, v3
	v_cmp_lt_i32_e64 s[0:1], v5, v7
	v_cndmask_b32_e64 v5, v3, v5, s[0:1]
	v_lshlrev_b32_e32 v5, 2, v5
	ds_bpermute_b32 v6, v5, v4
	v_and_b32_e32 v9, 1, v0
	v_cmp_eq_u32_e64 s[0:1], 0, v9
	ds_bpermute_b32 v11, v5, v10
	v_cndmask_b32_e64 v4, -v4, v4, s[0:1]
	s_waitcnt lgkmcnt(1)
	v_add_f32_e32 v4, v4, v6
	ds_bpermute_b32 v6, v5, v18
	v_cndmask_b32_e64 v9, -v10, v10, s[0:1]
	s_waitcnt lgkmcnt(1)
	v_add_f32_e32 v9, v9, v11
	v_cndmask_b32_e64 v11, -v18, v18, s[0:1]
	ds_bpermute_b32 v10, v5, v16
	s_waitcnt lgkmcnt(1)
	v_add_f32_e32 v6, v11, v6
	ds_bpermute_b32 v11, v5, v8
	v_cndmask_b32_e64 v13, -v16, v16, s[0:1]
	v_cndmask_b32_e64 v8, -v8, v8, s[0:1]
	s_waitcnt lgkmcnt(1)
	v_add_f32_e32 v10, v13, v10
	ds_bpermute_b32 v13, v5, v14
	s_waitcnt lgkmcnt(1)
	v_add_f32_e32 v8, v8, v11
	ds_bpermute_b32 v11, v5, v12
	ds_bpermute_b32 v5, v5, v2
	v_cndmask_b32_e64 v2, -v2, v2, s[0:1]
	v_cndmask_b32_e64 v14, -v14, v14, s[0:1]
	;; [unrolled: 1-line block ×3, first 2 shown]
	s_waitcnt lgkmcnt(1)
	v_add_f32_e32 v11, v12, v11
	s_waitcnt lgkmcnt(0)
	v_add_f32_e32 v2, v2, v5
	v_xor_b32_e32 v5, 2, v3
	v_cmp_lt_i32_e64 s[0:1], v5, v7
	v_cndmask_b32_e64 v5, v3, v5, s[0:1]
	v_lshlrev_b32_e32 v5, 2, v5
	ds_bpermute_b32 v12, v5, v4
	v_add_f32_e32 v13, v14, v13
	v_and_b32_e32 v14, 2, v0
	v_cmp_eq_u32_e64 s[0:1], 0, v14
	v_cndmask_b32_e64 v4, -v4, v4, s[0:1]
	s_waitcnt lgkmcnt(0)
	v_add_f32_e32 v4, v4, v12
	ds_bpermute_b32 v12, v5, v6
	v_cndmask_b32_e64 v6, -v6, v6, s[0:1]
	ds_bpermute_b32 v14, v5, v10
	v_cndmask_b32_e64 v10, -v10, v10, s[0:1]
	ds_bpermute_b32 v15, v5, v9
	s_waitcnt lgkmcnt(2)
	v_add_f32_e32 v6, v6, v12
	ds_bpermute_b32 v12, v5, v8
	v_cndmask_b32_e64 v8, -v8, v8, s[0:1]
	s_waitcnt lgkmcnt(2)
	v_add_f32_e32 v10, v10, v14
	ds_bpermute_b32 v14, v5, v13
	v_cndmask_b32_e64 v13, -v13, v13, s[0:1]
	s_waitcnt lgkmcnt(1)
	v_add_f32_e32 v8, v8, v12
	ds_bpermute_b32 v12, v5, v11
	ds_bpermute_b32 v5, v5, v2
	v_cndmask_b32_e64 v2, -v2, v2, s[0:1]
	s_waitcnt lgkmcnt(2)
	v_add_f32_e32 v13, v13, v14
	v_cndmask_b32_e64 v9, -v9, v9, s[0:1]
	v_cndmask_b32_e64 v11, -v11, v11, s[0:1]
	s_waitcnt lgkmcnt(0)
	v_add_f32_e32 v14, v2, v5
	v_xor_b32_e32 v2, 4, v3
	v_cmp_lt_i32_e64 s[0:1], v2, v7
	v_cndmask_b32_e64 v2, v3, v2, s[0:1]
	v_add_f32_e32 v9, v9, v15
	v_lshlrev_b32_e32 v15, 2, v2
	ds_bpermute_b32 v2, v15, v4
	v_and_b32_e32 v5, 4, v0
	v_cmp_eq_u32_e64 s[0:1], 0, v5
	v_cndmask_b32_e64 v4, -v4, v4, s[0:1]
	ds_bpermute_b32 v5, v15, v6
	v_add_f32_e32 v12, v11, v12
	ds_bpermute_b32 v11, v15, v9
	s_waitcnt lgkmcnt(2)
	v_add_f32_e32 v4, v4, v2
	v_cndmask_b32_e64 v2, -v9, v9, s[0:1]
	ds_bpermute_b32 v9, v15, v10
	v_cndmask_b32_e64 v6, -v6, v6, s[0:1]
	s_waitcnt lgkmcnt(2)
	v_add_f32_e32 v6, v6, v5
	v_cndmask_b32_e64 v5, -v10, v10, s[0:1]
	ds_bpermute_b32 v10, v15, v8
	s_waitcnt lgkmcnt(1)
	v_add_f32_e32 v9, v5, v9
	ds_bpermute_b32 v5, v15, v13
	ds_bpermute_b32 v16, v15, v12
	v_cndmask_b32_e64 v8, -v8, v8, s[0:1]
	v_add_f32_e32 v2, v2, v11
	s_waitcnt lgkmcnt(2)
	v_add_f32_e32 v11, v8, v10
	v_cndmask_b32_e64 v8, -v13, v13, s[0:1]
	v_xor_b32_e32 v13, 8, v3
	s_waitcnt lgkmcnt(1)
	v_add_f32_e32 v8, v8, v5
	v_cndmask_b32_e64 v5, -v12, v12, s[0:1]
	v_cndmask_b32_e64 v12, -v14, v14, s[0:1]
	v_cmp_lt_i32_e64 s[0:1], v13, v7
	v_cndmask_b32_e64 v3, v3, v13, s[0:1]
	s_waitcnt lgkmcnt(0)
	v_add_f32_e32 v5, v5, v16
	ds_bpermute_b32 v10, v15, v14
	v_lshlrev_b32_e32 v16, 2, v3
	ds_bpermute_b32 v7, v16, v4
	v_and_b32_e32 v0, 8, v0
	v_cmp_eq_u32_e64 s[0:1], 0, v0
	s_waitcnt lgkmcnt(1)
	v_add_f32_e32 v3, v12, v10
	v_cndmask_b32_e64 v0, -v4, v4, s[0:1]
	s_waitcnt lgkmcnt(0)
	v_add_f32_e32 v0, v0, v7
	ds_bpermute_b32 v15, v16, v2
	ds_bpermute_b32 v14, v16, v6
	;; [unrolled: 1-line block ×7, first 2 shown]
	v_mul_f32_e32 v16, s10, v0
	s_mov_b32 s2, 0x7f800000
	v_and_b32_e32 v0, 0x7f800000, v16
	v_cmp_ne_u32_e64 s[2:3], s2, v0
                                        ; implicit-def: $vgpr0
	s_and_saveexec_b64 s[8:9], s[2:3]
	s_xor_b64 s[2:3], exec, s[8:9]
; %bb.3:
	v_bfe_u32 v0, v16, 16, 1
	s_movk_i32 s8, 0x7fff
	v_add3_u32 v0, v16, v0, s8
                                        ; implicit-def: $vgpr16
; %bb.4:
	s_andn2_saveexec_b64 s[8:9], s[2:3]
; %bb.5:
	v_mov_b32_e32 v0, 0
	v_or_b32_e32 v17, 0x10000, v16
	v_cmp_eq_u32_sdwa s[2:3], v16, v0 src0_sel:WORD_0 src1_sel:DWORD
	v_cndmask_b32_e64 v0, v17, v16, s[2:3]
; %bb.6:
	s_or_b64 exec, exec, s[8:9]
	v_cndmask_b32_e64 v2, -v2, v2, s[0:1]
	s_waitcnt lgkmcnt(6)
	v_add_f32_e32 v2, v2, v15
	v_mul_f32_e32 v15, s10, v2
	s_mov_b32 s2, 0x7f800000
	v_and_b32_e32 v2, 0x7f800000, v15
	v_cmp_ne_u32_e64 s[2:3], s2, v2
                                        ; implicit-def: $vgpr2
	s_and_saveexec_b64 s[8:9], s[2:3]
	s_xor_b64 s[2:3], exec, s[8:9]
; %bb.7:
	v_bfe_u32 v2, v15, 16, 1
	s_movk_i32 s8, 0x7fff
	v_add3_u32 v2, v15, v2, s8
                                        ; implicit-def: $vgpr15
; %bb.8:
	s_andn2_saveexec_b64 s[8:9], s[2:3]
; %bb.9:
	v_mov_b32_e32 v2, 0
	v_or_b32_e32 v16, 0x10000, v15
	v_cmp_eq_u32_sdwa s[2:3], v15, v2 src0_sel:WORD_0 src1_sel:DWORD
	v_cndmask_b32_e64 v2, v16, v15, s[2:3]
; %bb.10:
	s_or_b64 exec, exec, s[8:9]
	v_cndmask_b32_e64 v6, -v6, v6, s[0:1]
	s_waitcnt lgkmcnt(5)
	v_add_f32_e32 v6, v6, v14
	v_mul_f32_e32 v14, s10, v6
	s_mov_b32 s2, 0x7f800000
	v_and_b32_e32 v6, 0x7f800000, v14
	v_cmp_ne_u32_e64 s[2:3], s2, v6
                                        ; implicit-def: $vgpr6
	s_and_saveexec_b64 s[8:9], s[2:3]
	s_xor_b64 s[2:3], exec, s[8:9]
; %bb.11:
	v_bfe_u32 v6, v14, 16, 1
	s_movk_i32 s8, 0x7fff
	v_add3_u32 v6, v14, v6, s8
                                        ; implicit-def: $vgpr14
; %bb.12:
	s_andn2_saveexec_b64 s[8:9], s[2:3]
; %bb.13:
	v_mov_b32_e32 v6, 0
	v_or_b32_e32 v15, 0x10000, v14
	v_cmp_eq_u32_sdwa s[2:3], v14, v6 src0_sel:WORD_0 src1_sel:DWORD
	v_cndmask_b32_e64 v6, v15, v14, s[2:3]
; %bb.14:
	s_or_b64 exec, exec, s[8:9]
	v_cndmask_b32_e64 v9, -v9, v9, s[0:1]
	s_waitcnt lgkmcnt(4)
	v_add_f32_e32 v9, v9, v13
	v_mul_f32_e32 v13, s10, v9
	s_mov_b32 s2, 0x7f800000
	v_and_b32_e32 v9, 0x7f800000, v13
	v_cmp_ne_u32_e64 s[2:3], s2, v9
                                        ; implicit-def: $vgpr9
	s_and_saveexec_b64 s[8:9], s[2:3]
	s_xor_b64 s[2:3], exec, s[8:9]
; %bb.15:
	v_bfe_u32 v9, v13, 16, 1
	s_movk_i32 s8, 0x7fff
	v_add3_u32 v9, v13, v9, s8
                                        ; implicit-def: $vgpr13
; %bb.16:
	s_andn2_saveexec_b64 s[8:9], s[2:3]
; %bb.17:
	v_mov_b32_e32 v9, 0
	v_or_b32_e32 v14, 0x10000, v13
	v_cmp_eq_u32_sdwa s[2:3], v13, v9 src0_sel:WORD_0 src1_sel:DWORD
	v_cndmask_b32_e64 v9, v14, v13, s[2:3]
; %bb.18:
	s_or_b64 exec, exec, s[8:9]
	v_cndmask_b32_e64 v11, -v11, v11, s[0:1]
	s_waitcnt lgkmcnt(3)
	v_add_f32_e32 v11, v11, v12
	v_mul_f32_e32 v12, s10, v11
	s_mov_b32 s2, 0x7f800000
	v_and_b32_e32 v11, 0x7f800000, v12
	v_cmp_ne_u32_e64 s[2:3], s2, v11
                                        ; implicit-def: $vgpr11
	s_and_saveexec_b64 s[8:9], s[2:3]
	s_xor_b64 s[2:3], exec, s[8:9]
; %bb.19:
	v_bfe_u32 v11, v12, 16, 1
	s_movk_i32 s8, 0x7fff
	v_add3_u32 v11, v12, v11, s8
                                        ; implicit-def: $vgpr12
; %bb.20:
	s_andn2_saveexec_b64 s[8:9], s[2:3]
; %bb.21:
	v_mov_b32_e32 v11, 0
	v_or_b32_e32 v13, 0x10000, v12
	v_cmp_eq_u32_sdwa s[2:3], v12, v11 src0_sel:WORD_0 src1_sel:DWORD
	v_cndmask_b32_e64 v11, v13, v12, s[2:3]
; %bb.22:
	s_or_b64 exec, exec, s[8:9]
	v_cndmask_b32_e64 v8, -v8, v8, s[0:1]
	s_waitcnt lgkmcnt(2)
	v_add_f32_e32 v8, v8, v10
	v_mul_f32_e32 v10, s10, v8
	s_mov_b32 s2, 0x7f800000
	v_and_b32_e32 v8, 0x7f800000, v10
	v_cmp_ne_u32_e64 s[2:3], s2, v8
                                        ; implicit-def: $vgpr8
	s_and_saveexec_b64 s[8:9], s[2:3]
	s_xor_b64 s[2:3], exec, s[8:9]
; %bb.23:
	v_bfe_u32 v8, v10, 16, 1
	s_movk_i32 s8, 0x7fff
	v_add3_u32 v8, v10, v8, s8
                                        ; implicit-def: $vgpr10
; %bb.24:
	s_andn2_saveexec_b64 s[8:9], s[2:3]
; %bb.25:
	v_mov_b32_e32 v8, 0
	v_or_b32_e32 v12, 0x10000, v10
	v_cmp_eq_u32_sdwa s[2:3], v10, v8 src0_sel:WORD_0 src1_sel:DWORD
	v_cndmask_b32_e64 v8, v12, v10, s[2:3]
; %bb.26:
	s_or_b64 exec, exec, s[8:9]
	v_cndmask_b32_e64 v5, -v5, v5, s[0:1]
	s_waitcnt lgkmcnt(1)
	v_add_f32_e32 v5, v5, v7
	v_mul_f32_e32 v7, s10, v5
	s_mov_b32 s2, 0x7f800000
	v_and_b32_e32 v5, 0x7f800000, v7
	v_cmp_ne_u32_e64 s[2:3], s2, v5
                                        ; implicit-def: $vgpr5
	s_and_saveexec_b64 s[8:9], s[2:3]
	s_xor_b64 s[2:3], exec, s[8:9]
; %bb.27:
	v_bfe_u32 v5, v7, 16, 1
	s_movk_i32 s8, 0x7fff
	v_add3_u32 v5, v7, v5, s8
                                        ; implicit-def: $vgpr7
; %bb.28:
	s_andn2_saveexec_b64 s[8:9], s[2:3]
; %bb.29:
	v_mov_b32_e32 v5, 0
	v_or_b32_e32 v10, 0x10000, v7
	v_cmp_eq_u32_sdwa s[2:3], v7, v5 src0_sel:WORD_0 src1_sel:DWORD
	v_cndmask_b32_e64 v5, v10, v7, s[2:3]
; %bb.30:
	s_or_b64 exec, exec, s[8:9]
	v_cndmask_b32_e64 v3, -v3, v3, s[0:1]
	s_waitcnt lgkmcnt(0)
	v_add_f32_e32 v3, v3, v4
	v_mul_f32_e32 v4, s10, v3
	s_mov_b32 s0, 0x7f800000
	v_and_b32_e32 v3, 0x7f800000, v4
	v_cmp_ne_u32_e64 s[0:1], s0, v3
                                        ; implicit-def: $vgpr3
	s_and_saveexec_b64 s[2:3], s[0:1]
	s_xor_b64 s[0:1], exec, s[2:3]
	s_cbranch_execnz .LBB30_34
; %bb.31:
	s_andn2_saveexec_b64 s[2:3], s[0:1]
	s_cbranch_execnz .LBB30_35
.LBB30_32:
	s_or_b64 exec, exec, s[2:3]
	s_and_saveexec_b64 s[0:1], vcc
	s_cbranch_execnz .LBB30_36
.LBB30_33:
	s_endpgm
.LBB30_34:
	v_bfe_u32 v3, v4, 16, 1
	s_movk_i32 s2, 0x7fff
	v_add3_u32 v3, v4, v3, s2
                                        ; implicit-def: $vgpr4
	s_andn2_saveexec_b64 s[2:3], s[0:1]
	s_cbranch_execz .LBB30_32
.LBB30_35:
	v_mov_b32_e32 v3, 0
	v_or_b32_e32 v7, 0x10000, v4
	v_cmp_eq_u32_sdwa s[0:1], v4, v3 src0_sel:WORD_0 src1_sel:DWORD
	v_cndmask_b32_e64 v3, v7, v4, s[0:1]
	s_or_b64 exec, exec, s[2:3]
	s_and_saveexec_b64 s[0:1], vcc
	s_cbranch_execz .LBB30_33
.LBB30_36:
	s_load_dwordx2 s[0:1], s[4:5], 0x18
	s_load_dwordx2 s[2:3], s[4:5], 0x30
	s_waitcnt lgkmcnt(0)
	s_mul_i32 s4, s0, s7
	s_mul_hi_u32 s5, s0, s6
	s_mul_i32 s1, s1, s6
	s_add_i32 s4, s5, s4
	s_mul_i32 s0, s0, s6
	s_add_i32 s1, s4, s1
	s_lshl_b64 s[0:1], s[0:1], 1
	s_add_u32 s0, s2, s0
	s_mov_b32 s2, 0x7060302
	s_addc_u32 s1, s3, s1
	v_perm_b32 v5, v3, v5, s2
	v_perm_b32 v4, v8, v11, s2
	;; [unrolled: 1-line block ×4, first 2 shown]
	global_store_dwordx4 v1, v[2:5], s[0:1]
	s_endpgm
	.section	.rodata,"a",@progbits
	.p2align	6, 0x0
	.amdhsa_kernel _Z30fast_hadamard_transform_kernelI37fast_hadamard_transform_kernel_traitsILi16ELi7E14__hip_bfloat16EEv18HadamardParamsBase
		.amdhsa_group_segment_fixed_size 0
		.amdhsa_private_segment_fixed_size 0
		.amdhsa_kernarg_size 56
		.amdhsa_user_sgpr_count 6
		.amdhsa_user_sgpr_private_segment_buffer 1
		.amdhsa_user_sgpr_dispatch_ptr 0
		.amdhsa_user_sgpr_queue_ptr 0
		.amdhsa_user_sgpr_kernarg_segment_ptr 1
		.amdhsa_user_sgpr_dispatch_id 0
		.amdhsa_user_sgpr_flat_scratch_init 0
		.amdhsa_user_sgpr_kernarg_preload_length 0
		.amdhsa_user_sgpr_kernarg_preload_offset 0
		.amdhsa_user_sgpr_private_segment_size 0
		.amdhsa_uses_dynamic_stack 0
		.amdhsa_system_sgpr_private_segment_wavefront_offset 0
		.amdhsa_system_sgpr_workgroup_id_x 1
		.amdhsa_system_sgpr_workgroup_id_y 0
		.amdhsa_system_sgpr_workgroup_id_z 0
		.amdhsa_system_sgpr_workgroup_info 0
		.amdhsa_system_vgpr_workitem_id 0
		.amdhsa_next_free_vgpr 20
		.amdhsa_next_free_sgpr 13
		.amdhsa_accum_offset 20
		.amdhsa_reserve_vcc 1
		.amdhsa_reserve_flat_scratch 0
		.amdhsa_float_round_mode_32 0
		.amdhsa_float_round_mode_16_64 0
		.amdhsa_float_denorm_mode_32 3
		.amdhsa_float_denorm_mode_16_64 3
		.amdhsa_dx10_clamp 1
		.amdhsa_ieee_mode 1
		.amdhsa_fp16_overflow 0
		.amdhsa_tg_split 0
		.amdhsa_exception_fp_ieee_invalid_op 0
		.amdhsa_exception_fp_denorm_src 0
		.amdhsa_exception_fp_ieee_div_zero 0
		.amdhsa_exception_fp_ieee_overflow 0
		.amdhsa_exception_fp_ieee_underflow 0
		.amdhsa_exception_fp_ieee_inexact 0
		.amdhsa_exception_int_div_zero 0
	.end_amdhsa_kernel
	.section	.text._Z30fast_hadamard_transform_kernelI37fast_hadamard_transform_kernel_traitsILi16ELi7E14__hip_bfloat16EEv18HadamardParamsBase,"axG",@progbits,_Z30fast_hadamard_transform_kernelI37fast_hadamard_transform_kernel_traitsILi16ELi7E14__hip_bfloat16EEv18HadamardParamsBase,comdat
.Lfunc_end30:
	.size	_Z30fast_hadamard_transform_kernelI37fast_hadamard_transform_kernel_traitsILi16ELi7E14__hip_bfloat16EEv18HadamardParamsBase, .Lfunc_end30-_Z30fast_hadamard_transform_kernelI37fast_hadamard_transform_kernel_traitsILi16ELi7E14__hip_bfloat16EEv18HadamardParamsBase
                                        ; -- End function
	.section	.AMDGPU.csdata,"",@progbits
; Kernel info:
; codeLenInByte = 2208
; NumSgprs: 17
; NumVgprs: 20
; NumAgprs: 0
; TotalNumVgprs: 20
; ScratchSize: 0
; MemoryBound: 0
; FloatMode: 240
; IeeeMode: 1
; LDSByteSize: 0 bytes/workgroup (compile time only)
; SGPRBlocks: 2
; VGPRBlocks: 2
; NumSGPRsForWavesPerEU: 17
; NumVGPRsForWavesPerEU: 20
; AccumOffset: 20
; Occupancy: 8
; WaveLimiterHint : 0
; COMPUTE_PGM_RSRC2:SCRATCH_EN: 0
; COMPUTE_PGM_RSRC2:USER_SGPR: 6
; COMPUTE_PGM_RSRC2:TRAP_HANDLER: 0
; COMPUTE_PGM_RSRC2:TGID_X_EN: 1
; COMPUTE_PGM_RSRC2:TGID_Y_EN: 0
; COMPUTE_PGM_RSRC2:TGID_Z_EN: 0
; COMPUTE_PGM_RSRC2:TIDIG_COMP_CNT: 0
; COMPUTE_PGM_RSRC3_GFX90A:ACCUM_OFFSET: 4
; COMPUTE_PGM_RSRC3_GFX90A:TG_SPLIT: 0
	.section	.text._Z30fast_hadamard_transform_kernelI37fast_hadamard_transform_kernel_traitsILi32ELi8E14__hip_bfloat16EEv18HadamardParamsBase,"axG",@progbits,_Z30fast_hadamard_transform_kernelI37fast_hadamard_transform_kernel_traitsILi32ELi8E14__hip_bfloat16EEv18HadamardParamsBase,comdat
	.protected	_Z30fast_hadamard_transform_kernelI37fast_hadamard_transform_kernel_traitsILi32ELi8E14__hip_bfloat16EEv18HadamardParamsBase ; -- Begin function _Z30fast_hadamard_transform_kernelI37fast_hadamard_transform_kernel_traitsILi32ELi8E14__hip_bfloat16EEv18HadamardParamsBase
	.globl	_Z30fast_hadamard_transform_kernelI37fast_hadamard_transform_kernel_traitsILi32ELi8E14__hip_bfloat16EEv18HadamardParamsBase
	.p2align	8
	.type	_Z30fast_hadamard_transform_kernelI37fast_hadamard_transform_kernel_traitsILi32ELi8E14__hip_bfloat16EEv18HadamardParamsBase,@function
_Z30fast_hadamard_transform_kernelI37fast_hadamard_transform_kernel_traitsILi32ELi8E14__hip_bfloat16EEv18HadamardParamsBase: ; @_Z30fast_hadamard_transform_kernelI37fast_hadamard_transform_kernel_traitsILi32ELi8E14__hip_bfloat16EEv18HadamardParamsBase
; %bb.0:
	s_load_dword s0, s[4:5], 0x4
	s_load_dword s10, s[4:5], 0x20
	v_lshlrev_b32_e32 v1, 3, v0
	v_mov_b32_e32 v2, 0
	s_ashr_i32 s7, s6, 31
	s_waitcnt lgkmcnt(0)
	v_cmp_gt_u32_e32 vcc, s0, v1
	v_lshlrev_b32_e32 v1, 4, v0
	v_mov_b32_e32 v3, v2
	v_mov_b32_e32 v4, v2
	;; [unrolled: 1-line block ×7, first 2 shown]
	s_and_saveexec_b64 s[0:1], vcc
	s_cbranch_execz .LBB31_2
; %bb.1:
	s_load_dwordx2 s[2:3], s[4:5], 0x10
	s_load_dwordx2 s[8:9], s[4:5], 0x28
	s_waitcnt lgkmcnt(0)
	s_mul_i32 s11, s2, s7
	s_mul_hi_u32 s12, s2, s6
	s_mul_i32 s3, s3, s6
	s_add_i32 s11, s12, s11
	s_mul_i32 s2, s2, s6
	s_add_i32 s3, s11, s3
	s_lshl_b64 s[2:3], s[2:3], 1
	s_add_u32 s2, s8, s2
	s_addc_u32 s3, s9, s3
	global_load_dwordx4 v[10:13], v1, s[2:3]
	s_waitcnt vmcnt(0)
	v_and_b32_e32 v9, 0xffff0000, v10
	v_lshlrev_b32_e32 v8, 16, v10
	v_and_b32_e32 v7, 0xffff0000, v11
	v_lshlrev_b32_e32 v6, 16, v11
	;; [unrolled: 2-line block ×4, first 2 shown]
.LBB31_2:
	s_or_b64 exec, exec, s[0:1]
	v_mov_b32_e32 v10, v9
	v_pk_add_f32 v[12:13], v[10:11], v[8:9] op_sel_hi:[0,1]
	v_pk_add_f32 v[8:9], v[8:9], v[10:11] op_sel_hi:[1,0] neg_lo:[0,1] neg_hi:[0,1]
	v_mov_b32_e32 v10, v7
	v_pk_add_f32 v[14:15], v[10:11], v[6:7] op_sel_hi:[0,1]
	v_pk_add_f32 v[6:7], v[6:7], v[10:11] op_sel_hi:[1,0] neg_lo:[0,1] neg_hi:[0,1]
	;; [unrolled: 3-line block ×4, first 2 shown]
	v_pk_add_f32 v[10:11], v[14:15], v[12:13]
	v_pk_add_f32 v[12:13], v[12:13], v[14:15] neg_lo:[0,1] neg_hi:[0,1]
	v_pk_add_f32 v[14:15], v[6:7], v[8:9]
	v_pk_add_f32 v[6:7], v[8:9], v[6:7] neg_lo:[0,1] neg_hi:[0,1]
	;; [unrolled: 2-line block ×8, first 2 shown]
	v_mbcnt_lo_u32_b32 v3, -1, 0
	v_mbcnt_hi_u32_b32 v3, -1, v3
	v_and_b32_e32 v5, 64, v3
	v_add_u32_e32 v7, 64, v5
	v_xor_b32_e32 v5, 1, v3
	v_cmp_lt_i32_e64 s[0:1], v5, v7
	v_cndmask_b32_e64 v5, v3, v5, s[0:1]
	v_lshlrev_b32_e32 v5, 2, v5
	ds_bpermute_b32 v6, v5, v4
	v_and_b32_e32 v9, 1, v0
	v_cmp_eq_u32_e64 s[0:1], 0, v9
	ds_bpermute_b32 v11, v5, v10
	v_cndmask_b32_e64 v4, -v4, v4, s[0:1]
	s_waitcnt lgkmcnt(1)
	v_add_f32_e32 v4, v4, v6
	ds_bpermute_b32 v6, v5, v18
	v_cndmask_b32_e64 v9, -v10, v10, s[0:1]
	s_waitcnt lgkmcnt(1)
	v_add_f32_e32 v9, v9, v11
	v_cndmask_b32_e64 v11, -v18, v18, s[0:1]
	ds_bpermute_b32 v10, v5, v16
	s_waitcnt lgkmcnt(1)
	v_add_f32_e32 v6, v11, v6
	ds_bpermute_b32 v11, v5, v8
	v_cndmask_b32_e64 v13, -v16, v16, s[0:1]
	v_cndmask_b32_e64 v8, -v8, v8, s[0:1]
	s_waitcnt lgkmcnt(1)
	v_add_f32_e32 v10, v13, v10
	ds_bpermute_b32 v13, v5, v14
	s_waitcnt lgkmcnt(1)
	v_add_f32_e32 v8, v8, v11
	ds_bpermute_b32 v11, v5, v12
	ds_bpermute_b32 v5, v5, v2
	v_cndmask_b32_e64 v2, -v2, v2, s[0:1]
	v_cndmask_b32_e64 v14, -v14, v14, s[0:1]
	;; [unrolled: 1-line block ×3, first 2 shown]
	s_waitcnt lgkmcnt(1)
	v_add_f32_e32 v11, v12, v11
	s_waitcnt lgkmcnt(0)
	v_add_f32_e32 v2, v2, v5
	v_xor_b32_e32 v5, 2, v3
	v_cmp_lt_i32_e64 s[0:1], v5, v7
	v_cndmask_b32_e64 v5, v3, v5, s[0:1]
	v_lshlrev_b32_e32 v5, 2, v5
	ds_bpermute_b32 v12, v5, v4
	v_add_f32_e32 v13, v14, v13
	v_and_b32_e32 v14, 2, v0
	v_cmp_eq_u32_e64 s[0:1], 0, v14
	v_cndmask_b32_e64 v4, -v4, v4, s[0:1]
	s_waitcnt lgkmcnt(0)
	v_add_f32_e32 v4, v4, v12
	ds_bpermute_b32 v12, v5, v6
	v_cndmask_b32_e64 v6, -v6, v6, s[0:1]
	ds_bpermute_b32 v14, v5, v10
	v_cndmask_b32_e64 v10, -v10, v10, s[0:1]
	ds_bpermute_b32 v15, v5, v9
	s_waitcnt lgkmcnt(2)
	v_add_f32_e32 v6, v6, v12
	ds_bpermute_b32 v12, v5, v8
	v_cndmask_b32_e64 v8, -v8, v8, s[0:1]
	s_waitcnt lgkmcnt(2)
	v_add_f32_e32 v10, v10, v14
	ds_bpermute_b32 v14, v5, v13
	v_cndmask_b32_e64 v9, -v9, v9, s[0:1]
	s_waitcnt lgkmcnt(1)
	v_add_f32_e32 v8, v8, v12
	ds_bpermute_b32 v12, v5, v11
	ds_bpermute_b32 v5, v5, v2
	v_cndmask_b32_e64 v2, -v2, v2, s[0:1]
	v_cndmask_b32_e64 v13, -v13, v13, s[0:1]
	;; [unrolled: 1-line block ×3, first 2 shown]
	s_waitcnt lgkmcnt(1)
	v_add_f32_e32 v11, v11, v12
	s_waitcnt lgkmcnt(0)
	v_add_f32_e32 v2, v2, v5
	v_xor_b32_e32 v5, 4, v3
	v_cmp_lt_i32_e64 s[0:1], v5, v7
	v_cndmask_b32_e64 v5, v3, v5, s[0:1]
	v_lshlrev_b32_e32 v5, 2, v5
	ds_bpermute_b32 v12, v5, v4
	v_add_f32_e32 v13, v13, v14
	v_and_b32_e32 v14, 4, v0
	v_cmp_eq_u32_e64 s[0:1], 0, v14
	v_cndmask_b32_e64 v4, -v4, v4, s[0:1]
	s_waitcnt lgkmcnt(0)
	v_add_f32_e32 v4, v4, v12
	ds_bpermute_b32 v12, v5, v6
	v_cndmask_b32_e64 v6, -v6, v6, s[0:1]
	ds_bpermute_b32 v14, v5, v10
	v_add_f32_e32 v9, v9, v15
	v_cndmask_b32_e64 v10, -v10, v10, s[0:1]
	s_waitcnt lgkmcnt(1)
	v_add_f32_e32 v6, v6, v12
	ds_bpermute_b32 v12, v5, v8
	v_cndmask_b32_e64 v8, -v8, v8, s[0:1]
	ds_bpermute_b32 v15, v5, v9
	s_waitcnt lgkmcnt(2)
	v_add_f32_e32 v10, v10, v14
	ds_bpermute_b32 v14, v5, v13
	s_waitcnt lgkmcnt(2)
	v_add_f32_e32 v8, v8, v12
	ds_bpermute_b32 v12, v5, v11
	ds_bpermute_b32 v5, v5, v2
	v_cndmask_b32_e64 v13, -v13, v13, s[0:1]
	v_cndmask_b32_e64 v2, -v2, v2, s[0:1]
	s_waitcnt lgkmcnt(2)
	v_add_f32_e32 v13, v13, v14
	v_cndmask_b32_e64 v9, -v9, v9, s[0:1]
	s_waitcnt lgkmcnt(0)
	v_add_f32_e32 v14, v2, v5
	v_xor_b32_e32 v2, 8, v3
	v_cndmask_b32_e64 v11, -v11, v11, s[0:1]
	v_cmp_lt_i32_e64 s[0:1], v2, v7
	v_cndmask_b32_e64 v2, v3, v2, s[0:1]
	v_add_f32_e32 v9, v9, v15
	v_lshlrev_b32_e32 v15, 2, v2
	ds_bpermute_b32 v2, v15, v4
	v_and_b32_e32 v5, 8, v0
	v_cmp_eq_u32_e64 s[0:1], 0, v5
	v_cndmask_b32_e64 v4, -v4, v4, s[0:1]
	ds_bpermute_b32 v5, v15, v6
	v_add_f32_e32 v12, v11, v12
	ds_bpermute_b32 v11, v15, v9
	s_waitcnt lgkmcnt(2)
	v_add_f32_e32 v4, v4, v2
	v_cndmask_b32_e64 v2, -v9, v9, s[0:1]
	ds_bpermute_b32 v9, v15, v10
	v_cndmask_b32_e64 v6, -v6, v6, s[0:1]
	s_waitcnt lgkmcnt(2)
	v_add_f32_e32 v6, v6, v5
	v_cndmask_b32_e64 v5, -v10, v10, s[0:1]
	ds_bpermute_b32 v10, v15, v8
	s_waitcnt lgkmcnt(1)
	v_add_f32_e32 v9, v5, v9
	ds_bpermute_b32 v5, v15, v13
	ds_bpermute_b32 v16, v15, v12
	v_cndmask_b32_e64 v8, -v8, v8, s[0:1]
	v_add_f32_e32 v2, v2, v11
	s_waitcnt lgkmcnt(2)
	v_add_f32_e32 v11, v8, v10
	v_cndmask_b32_e64 v8, -v13, v13, s[0:1]
	v_xor_b32_e32 v13, 16, v3
	s_waitcnt lgkmcnt(1)
	v_add_f32_e32 v8, v8, v5
	v_cndmask_b32_e64 v5, -v12, v12, s[0:1]
	v_cndmask_b32_e64 v12, -v14, v14, s[0:1]
	v_cmp_lt_i32_e64 s[0:1], v13, v7
	v_cndmask_b32_e64 v3, v3, v13, s[0:1]
	s_waitcnt lgkmcnt(0)
	v_add_f32_e32 v5, v5, v16
	ds_bpermute_b32 v10, v15, v14
	v_lshlrev_b32_e32 v16, 2, v3
	ds_bpermute_b32 v7, v16, v4
	v_and_b32_e32 v0, 16, v0
	v_cmp_eq_u32_e64 s[0:1], 0, v0
	s_waitcnt lgkmcnt(1)
	v_add_f32_e32 v3, v12, v10
	v_cndmask_b32_e64 v0, -v4, v4, s[0:1]
	s_waitcnt lgkmcnt(0)
	v_add_f32_e32 v0, v0, v7
	ds_bpermute_b32 v15, v16, v2
	ds_bpermute_b32 v14, v16, v6
	;; [unrolled: 1-line block ×7, first 2 shown]
	v_mul_f32_e32 v16, s10, v0
	s_mov_b32 s2, 0x7f800000
	v_and_b32_e32 v0, 0x7f800000, v16
	v_cmp_ne_u32_e64 s[2:3], s2, v0
                                        ; implicit-def: $vgpr0
	s_and_saveexec_b64 s[8:9], s[2:3]
	s_xor_b64 s[2:3], exec, s[8:9]
; %bb.3:
	v_bfe_u32 v0, v16, 16, 1
	s_movk_i32 s8, 0x7fff
	v_add3_u32 v0, v16, v0, s8
                                        ; implicit-def: $vgpr16
; %bb.4:
	s_andn2_saveexec_b64 s[8:9], s[2:3]
; %bb.5:
	v_mov_b32_e32 v0, 0
	v_or_b32_e32 v17, 0x10000, v16
	v_cmp_eq_u32_sdwa s[2:3], v16, v0 src0_sel:WORD_0 src1_sel:DWORD
	v_cndmask_b32_e64 v0, v17, v16, s[2:3]
; %bb.6:
	s_or_b64 exec, exec, s[8:9]
	v_cndmask_b32_e64 v2, -v2, v2, s[0:1]
	s_waitcnt lgkmcnt(6)
	v_add_f32_e32 v2, v2, v15
	v_mul_f32_e32 v15, s10, v2
	s_mov_b32 s2, 0x7f800000
	v_and_b32_e32 v2, 0x7f800000, v15
	v_cmp_ne_u32_e64 s[2:3], s2, v2
                                        ; implicit-def: $vgpr2
	s_and_saveexec_b64 s[8:9], s[2:3]
	s_xor_b64 s[2:3], exec, s[8:9]
; %bb.7:
	v_bfe_u32 v2, v15, 16, 1
	s_movk_i32 s8, 0x7fff
	v_add3_u32 v2, v15, v2, s8
                                        ; implicit-def: $vgpr15
; %bb.8:
	s_andn2_saveexec_b64 s[8:9], s[2:3]
; %bb.9:
	v_mov_b32_e32 v2, 0
	v_or_b32_e32 v16, 0x10000, v15
	v_cmp_eq_u32_sdwa s[2:3], v15, v2 src0_sel:WORD_0 src1_sel:DWORD
	v_cndmask_b32_e64 v2, v16, v15, s[2:3]
; %bb.10:
	s_or_b64 exec, exec, s[8:9]
	v_cndmask_b32_e64 v6, -v6, v6, s[0:1]
	s_waitcnt lgkmcnt(5)
	v_add_f32_e32 v6, v6, v14
	v_mul_f32_e32 v14, s10, v6
	s_mov_b32 s2, 0x7f800000
	v_and_b32_e32 v6, 0x7f800000, v14
	v_cmp_ne_u32_e64 s[2:3], s2, v6
                                        ; implicit-def: $vgpr6
	s_and_saveexec_b64 s[8:9], s[2:3]
	s_xor_b64 s[2:3], exec, s[8:9]
; %bb.11:
	v_bfe_u32 v6, v14, 16, 1
	s_movk_i32 s8, 0x7fff
	v_add3_u32 v6, v14, v6, s8
                                        ; implicit-def: $vgpr14
; %bb.12:
	s_andn2_saveexec_b64 s[8:9], s[2:3]
; %bb.13:
	v_mov_b32_e32 v6, 0
	v_or_b32_e32 v15, 0x10000, v14
	v_cmp_eq_u32_sdwa s[2:3], v14, v6 src0_sel:WORD_0 src1_sel:DWORD
	v_cndmask_b32_e64 v6, v15, v14, s[2:3]
; %bb.14:
	s_or_b64 exec, exec, s[8:9]
	v_cndmask_b32_e64 v9, -v9, v9, s[0:1]
	s_waitcnt lgkmcnt(4)
	v_add_f32_e32 v9, v9, v13
	v_mul_f32_e32 v13, s10, v9
	s_mov_b32 s2, 0x7f800000
	v_and_b32_e32 v9, 0x7f800000, v13
	v_cmp_ne_u32_e64 s[2:3], s2, v9
                                        ; implicit-def: $vgpr9
	s_and_saveexec_b64 s[8:9], s[2:3]
	s_xor_b64 s[2:3], exec, s[8:9]
; %bb.15:
	v_bfe_u32 v9, v13, 16, 1
	s_movk_i32 s8, 0x7fff
	v_add3_u32 v9, v13, v9, s8
                                        ; implicit-def: $vgpr13
; %bb.16:
	s_andn2_saveexec_b64 s[8:9], s[2:3]
; %bb.17:
	v_mov_b32_e32 v9, 0
	v_or_b32_e32 v14, 0x10000, v13
	v_cmp_eq_u32_sdwa s[2:3], v13, v9 src0_sel:WORD_0 src1_sel:DWORD
	v_cndmask_b32_e64 v9, v14, v13, s[2:3]
; %bb.18:
	s_or_b64 exec, exec, s[8:9]
	v_cndmask_b32_e64 v11, -v11, v11, s[0:1]
	s_waitcnt lgkmcnt(3)
	v_add_f32_e32 v11, v11, v12
	v_mul_f32_e32 v12, s10, v11
	s_mov_b32 s2, 0x7f800000
	v_and_b32_e32 v11, 0x7f800000, v12
	v_cmp_ne_u32_e64 s[2:3], s2, v11
                                        ; implicit-def: $vgpr11
	s_and_saveexec_b64 s[8:9], s[2:3]
	s_xor_b64 s[2:3], exec, s[8:9]
; %bb.19:
	v_bfe_u32 v11, v12, 16, 1
	s_movk_i32 s8, 0x7fff
	v_add3_u32 v11, v12, v11, s8
                                        ; implicit-def: $vgpr12
; %bb.20:
	s_andn2_saveexec_b64 s[8:9], s[2:3]
; %bb.21:
	v_mov_b32_e32 v11, 0
	v_or_b32_e32 v13, 0x10000, v12
	v_cmp_eq_u32_sdwa s[2:3], v12, v11 src0_sel:WORD_0 src1_sel:DWORD
	v_cndmask_b32_e64 v11, v13, v12, s[2:3]
; %bb.22:
	s_or_b64 exec, exec, s[8:9]
	v_cndmask_b32_e64 v8, -v8, v8, s[0:1]
	s_waitcnt lgkmcnt(2)
	v_add_f32_e32 v8, v8, v10
	v_mul_f32_e32 v10, s10, v8
	s_mov_b32 s2, 0x7f800000
	v_and_b32_e32 v8, 0x7f800000, v10
	v_cmp_ne_u32_e64 s[2:3], s2, v8
                                        ; implicit-def: $vgpr8
	s_and_saveexec_b64 s[8:9], s[2:3]
	s_xor_b64 s[2:3], exec, s[8:9]
; %bb.23:
	v_bfe_u32 v8, v10, 16, 1
	s_movk_i32 s8, 0x7fff
	v_add3_u32 v8, v10, v8, s8
                                        ; implicit-def: $vgpr10
; %bb.24:
	s_andn2_saveexec_b64 s[8:9], s[2:3]
; %bb.25:
	v_mov_b32_e32 v8, 0
	v_or_b32_e32 v12, 0x10000, v10
	v_cmp_eq_u32_sdwa s[2:3], v10, v8 src0_sel:WORD_0 src1_sel:DWORD
	v_cndmask_b32_e64 v8, v12, v10, s[2:3]
; %bb.26:
	s_or_b64 exec, exec, s[8:9]
	v_cndmask_b32_e64 v5, -v5, v5, s[0:1]
	s_waitcnt lgkmcnt(1)
	v_add_f32_e32 v5, v5, v7
	v_mul_f32_e32 v7, s10, v5
	s_mov_b32 s2, 0x7f800000
	v_and_b32_e32 v5, 0x7f800000, v7
	v_cmp_ne_u32_e64 s[2:3], s2, v5
                                        ; implicit-def: $vgpr5
	s_and_saveexec_b64 s[8:9], s[2:3]
	s_xor_b64 s[2:3], exec, s[8:9]
; %bb.27:
	v_bfe_u32 v5, v7, 16, 1
	s_movk_i32 s8, 0x7fff
	v_add3_u32 v5, v7, v5, s8
                                        ; implicit-def: $vgpr7
; %bb.28:
	s_andn2_saveexec_b64 s[8:9], s[2:3]
; %bb.29:
	v_mov_b32_e32 v5, 0
	v_or_b32_e32 v10, 0x10000, v7
	v_cmp_eq_u32_sdwa s[2:3], v7, v5 src0_sel:WORD_0 src1_sel:DWORD
	v_cndmask_b32_e64 v5, v10, v7, s[2:3]
; %bb.30:
	s_or_b64 exec, exec, s[8:9]
	v_cndmask_b32_e64 v3, -v3, v3, s[0:1]
	s_waitcnt lgkmcnt(0)
	v_add_f32_e32 v3, v3, v4
	v_mul_f32_e32 v4, s10, v3
	s_mov_b32 s0, 0x7f800000
	v_and_b32_e32 v3, 0x7f800000, v4
	v_cmp_ne_u32_e64 s[0:1], s0, v3
                                        ; implicit-def: $vgpr3
	s_and_saveexec_b64 s[2:3], s[0:1]
	s_xor_b64 s[0:1], exec, s[2:3]
	s_cbranch_execnz .LBB31_34
; %bb.31:
	s_andn2_saveexec_b64 s[2:3], s[0:1]
	s_cbranch_execnz .LBB31_35
.LBB31_32:
	s_or_b64 exec, exec, s[2:3]
	s_and_saveexec_b64 s[0:1], vcc
	s_cbranch_execnz .LBB31_36
.LBB31_33:
	s_endpgm
.LBB31_34:
	v_bfe_u32 v3, v4, 16, 1
	s_movk_i32 s2, 0x7fff
	v_add3_u32 v3, v4, v3, s2
                                        ; implicit-def: $vgpr4
	s_andn2_saveexec_b64 s[2:3], s[0:1]
	s_cbranch_execz .LBB31_32
.LBB31_35:
	v_mov_b32_e32 v3, 0
	v_or_b32_e32 v7, 0x10000, v4
	v_cmp_eq_u32_sdwa s[0:1], v4, v3 src0_sel:WORD_0 src1_sel:DWORD
	v_cndmask_b32_e64 v3, v7, v4, s[0:1]
	s_or_b64 exec, exec, s[2:3]
	s_and_saveexec_b64 s[0:1], vcc
	s_cbranch_execz .LBB31_33
.LBB31_36:
	s_load_dwordx2 s[0:1], s[4:5], 0x18
	s_load_dwordx2 s[2:3], s[4:5], 0x30
	s_waitcnt lgkmcnt(0)
	s_mul_i32 s4, s0, s7
	s_mul_hi_u32 s5, s0, s6
	s_mul_i32 s1, s1, s6
	s_add_i32 s4, s5, s4
	s_mul_i32 s0, s0, s6
	s_add_i32 s1, s4, s1
	s_lshl_b64 s[0:1], s[0:1], 1
	s_add_u32 s0, s2, s0
	s_mov_b32 s2, 0x7060302
	s_addc_u32 s1, s3, s1
	v_perm_b32 v5, v3, v5, s2
	v_perm_b32 v4, v8, v11, s2
	;; [unrolled: 1-line block ×4, first 2 shown]
	global_store_dwordx4 v1, v[2:5], s[0:1]
	s_endpgm
	.section	.rodata,"a",@progbits
	.p2align	6, 0x0
	.amdhsa_kernel _Z30fast_hadamard_transform_kernelI37fast_hadamard_transform_kernel_traitsILi32ELi8E14__hip_bfloat16EEv18HadamardParamsBase
		.amdhsa_group_segment_fixed_size 0
		.amdhsa_private_segment_fixed_size 0
		.amdhsa_kernarg_size 56
		.amdhsa_user_sgpr_count 6
		.amdhsa_user_sgpr_private_segment_buffer 1
		.amdhsa_user_sgpr_dispatch_ptr 0
		.amdhsa_user_sgpr_queue_ptr 0
		.amdhsa_user_sgpr_kernarg_segment_ptr 1
		.amdhsa_user_sgpr_dispatch_id 0
		.amdhsa_user_sgpr_flat_scratch_init 0
		.amdhsa_user_sgpr_kernarg_preload_length 0
		.amdhsa_user_sgpr_kernarg_preload_offset 0
		.amdhsa_user_sgpr_private_segment_size 0
		.amdhsa_uses_dynamic_stack 0
		.amdhsa_system_sgpr_private_segment_wavefront_offset 0
		.amdhsa_system_sgpr_workgroup_id_x 1
		.amdhsa_system_sgpr_workgroup_id_y 0
		.amdhsa_system_sgpr_workgroup_id_z 0
		.amdhsa_system_sgpr_workgroup_info 0
		.amdhsa_system_vgpr_workitem_id 0
		.amdhsa_next_free_vgpr 20
		.amdhsa_next_free_sgpr 13
		.amdhsa_accum_offset 20
		.amdhsa_reserve_vcc 1
		.amdhsa_reserve_flat_scratch 0
		.amdhsa_float_round_mode_32 0
		.amdhsa_float_round_mode_16_64 0
		.amdhsa_float_denorm_mode_32 3
		.amdhsa_float_denorm_mode_16_64 3
		.amdhsa_dx10_clamp 1
		.amdhsa_ieee_mode 1
		.amdhsa_fp16_overflow 0
		.amdhsa_tg_split 0
		.amdhsa_exception_fp_ieee_invalid_op 0
		.amdhsa_exception_fp_denorm_src 0
		.amdhsa_exception_fp_ieee_div_zero 0
		.amdhsa_exception_fp_ieee_overflow 0
		.amdhsa_exception_fp_ieee_underflow 0
		.amdhsa_exception_fp_ieee_inexact 0
		.amdhsa_exception_int_div_zero 0
	.end_amdhsa_kernel
	.section	.text._Z30fast_hadamard_transform_kernelI37fast_hadamard_transform_kernel_traitsILi32ELi8E14__hip_bfloat16EEv18HadamardParamsBase,"axG",@progbits,_Z30fast_hadamard_transform_kernelI37fast_hadamard_transform_kernel_traitsILi32ELi8E14__hip_bfloat16EEv18HadamardParamsBase,comdat
.Lfunc_end31:
	.size	_Z30fast_hadamard_transform_kernelI37fast_hadamard_transform_kernel_traitsILi32ELi8E14__hip_bfloat16EEv18HadamardParamsBase, .Lfunc_end31-_Z30fast_hadamard_transform_kernelI37fast_hadamard_transform_kernel_traitsILi32ELi8E14__hip_bfloat16EEv18HadamardParamsBase
                                        ; -- End function
	.section	.AMDGPU.csdata,"",@progbits
; Kernel info:
; codeLenInByte = 2428
; NumSgprs: 17
; NumVgprs: 20
; NumAgprs: 0
; TotalNumVgprs: 20
; ScratchSize: 0
; MemoryBound: 0
; FloatMode: 240
; IeeeMode: 1
; LDSByteSize: 0 bytes/workgroup (compile time only)
; SGPRBlocks: 2
; VGPRBlocks: 2
; NumSGPRsForWavesPerEU: 17
; NumVGPRsForWavesPerEU: 20
; AccumOffset: 20
; Occupancy: 8
; WaveLimiterHint : 0
; COMPUTE_PGM_RSRC2:SCRATCH_EN: 0
; COMPUTE_PGM_RSRC2:USER_SGPR: 6
; COMPUTE_PGM_RSRC2:TRAP_HANDLER: 0
; COMPUTE_PGM_RSRC2:TGID_X_EN: 1
; COMPUTE_PGM_RSRC2:TGID_Y_EN: 0
; COMPUTE_PGM_RSRC2:TGID_Z_EN: 0
; COMPUTE_PGM_RSRC2:TIDIG_COMP_CNT: 0
; COMPUTE_PGM_RSRC3_GFX90A:ACCUM_OFFSET: 4
; COMPUTE_PGM_RSRC3_GFX90A:TG_SPLIT: 0
	.section	.text._Z30fast_hadamard_transform_kernelI37fast_hadamard_transform_kernel_traitsILi32ELi9E14__hip_bfloat16EEv18HadamardParamsBase,"axG",@progbits,_Z30fast_hadamard_transform_kernelI37fast_hadamard_transform_kernel_traitsILi32ELi9E14__hip_bfloat16EEv18HadamardParamsBase,comdat
	.protected	_Z30fast_hadamard_transform_kernelI37fast_hadamard_transform_kernel_traitsILi32ELi9E14__hip_bfloat16EEv18HadamardParamsBase ; -- Begin function _Z30fast_hadamard_transform_kernelI37fast_hadamard_transform_kernel_traitsILi32ELi9E14__hip_bfloat16EEv18HadamardParamsBase
	.globl	_Z30fast_hadamard_transform_kernelI37fast_hadamard_transform_kernel_traitsILi32ELi9E14__hip_bfloat16EEv18HadamardParamsBase
	.p2align	8
	.type	_Z30fast_hadamard_transform_kernelI37fast_hadamard_transform_kernel_traitsILi32ELi9E14__hip_bfloat16EEv18HadamardParamsBase,@function
_Z30fast_hadamard_transform_kernelI37fast_hadamard_transform_kernel_traitsILi32ELi9E14__hip_bfloat16EEv18HadamardParamsBase: ; @_Z30fast_hadamard_transform_kernelI37fast_hadamard_transform_kernel_traitsILi32ELi9E14__hip_bfloat16EEv18HadamardParamsBase
; %bb.0:
	s_load_dwordx4 s[8:11], s[4:5], 0x10
	s_load_dword s16, s[4:5], 0x4
	s_ashr_i32 s7, s6, 31
	s_load_dwordx4 s[12:15], s[4:5], 0x28
	v_lshlrev_b32_e32 v1, 3, v0
	s_waitcnt lgkmcnt(0)
	s_mul_hi_u32 s0, s8, s6
	s_mul_i32 s1, s8, s7
	s_add_i32 s0, s0, s1
	s_mul_i32 s1, s9, s6
	s_add_i32 s1, s0, s1
	s_mul_i32 s0, s8, s6
	s_load_dword s8, s[4:5], 0x44
	s_lshl_b64 s[0:1], s[0:1], 1
	s_add_u32 s2, s12, s0
	s_addc_u32 s3, s13, s1
	v_cmp_gt_u32_e32 vcc, s16, v1
	v_mov_b32_e32 v3, 0
	v_lshlrev_b32_e32 v18, 4, v0
	v_mov_b32_e32 v4, 0
	v_mov_b32_e32 v5, 0
	v_mov_b32_e32 v6, 0
	v_mov_b32_e32 v7, 0
	v_mov_b32_e32 v8, 0
	v_mov_b32_e32 v9, 0
	v_mov_b32_e32 v10, 0
	v_mov_b32_e32 v11, 0
	s_and_saveexec_b64 s[0:1], vcc
	s_cbranch_execz .LBB32_2
; %bb.1:
	global_load_dwordx4 v[10:13], v18, s[2:3]
	s_waitcnt vmcnt(0)
	v_lshlrev_b32_e32 v4, 16, v10
	v_lshlrev_b32_e32 v5, 16, v12
	v_and_b32_e32 v6, 0xffff0000, v10
	v_and_b32_e32 v7, 0xffff0000, v12
	v_lshlrev_b32_e32 v8, 16, v11
	v_lshlrev_b32_e32 v9, 16, v13
	v_and_b32_e32 v10, 0xffff0000, v11
	v_and_b32_e32 v11, 0xffff0000, v13
.LBB32_2:
	s_or_b64 exec, exec, s[0:1]
	s_load_dword s12, s[4:5], 0x20
	s_waitcnt lgkmcnt(0)
	s_and_b32 s0, 0xffff, s8
	v_add_u32_e32 v1, s0, v0
	v_lshlrev_b32_e32 v2, 3, v1
	v_cmp_gt_u32_e64 s[0:1], s16, v2
	v_lshlrev_b32_e32 v19, 4, v1
	v_mov_b32_e32 v13, 0
	v_mov_b32_e32 v17, 0
	;; [unrolled: 1-line block ×7, first 2 shown]
	s_and_saveexec_b64 s[4:5], s[0:1]
	s_cbranch_execz .LBB32_4
; %bb.3:
	global_load_dwordx4 v[20:23], v19, s[2:3]
	s_waitcnt vmcnt(0)
	v_and_b32_e32 v14, 0xffff0000, v20
	v_lshlrev_b32_e32 v16, 16, v20
	v_and_b32_e32 v12, 0xffff0000, v21
	v_lshlrev_b32_e32 v2, 16, v21
	;; [unrolled: 2-line block ×4, first 2 shown]
.LBB32_4:
	s_or_b64 exec, exec, s[4:5]
	v_pk_add_f32 v[20:21], v[4:5], v[6:7] neg_lo:[0,1] neg_hi:[0,1]
	v_pk_add_f32 v[4:5], v[4:5], v[6:7]
	v_pk_add_f32 v[6:7], v[8:9], v[10:11]
	v_pk_add_f32 v[22:23], v[8:9], v[10:11] neg_lo:[0,1] neg_hi:[0,1]
	v_pk_add_f32 v[8:9], v[4:5], v[6:7] neg_lo:[0,1] neg_hi:[0,1]
	v_pk_add_f32 v[4:5], v[4:5], v[6:7]
	v_pk_add_f32 v[6:7], v[16:17], v[14:15] neg_lo:[0,1] neg_hi:[0,1]
	v_pk_add_f32 v[10:11], v[2:3], v[12:13] neg_lo:[0,1] neg_hi:[0,1]
	v_pk_add_f32 v[14:15], v[16:17], v[14:15]
	v_pk_add_f32 v[2:3], v[2:3], v[12:13]
	v_pk_add_f32 v[12:13], v[14:15], v[2:3] neg_lo:[0,1] neg_hi:[0,1]
	v_pk_add_f32 v[16:17], v[6:7], v[10:11]
	v_pk_add_f32 v[6:7], v[6:7], v[10:11] neg_lo:[0,1] neg_hi:[0,1]
	v_pk_add_f32 v[2:3], v[14:15], v[2:3]
	v_mov_b32_e32 v10, v5
	v_pk_add_f32 v[24:25], v[20:21], v[22:23]
	v_pk_add_f32 v[14:15], v[4:5], v[10:11]
	v_pk_add_f32 v[4:5], v[4:5], v[10:11] neg_lo:[0,1] neg_hi:[0,1]
	v_mov_b32_e32 v10, v3
	v_pk_add_f32 v[20:21], v[20:21], v[22:23] neg_lo:[0,1] neg_hi:[0,1]
	v_pk_add_f32 v[22:23], v[2:3], v[10:11]
	v_pk_add_f32 v[2:3], v[2:3], v[10:11] neg_lo:[0,1] neg_hi:[0,1]
	v_mov_b32_e32 v10, v25
	v_mbcnt_lo_u32_b32 v1, -1, 0
	v_pk_add_f32 v[26:27], v[24:25], v[10:11]
	v_pk_add_f32 v[10:11], v[24:25], v[10:11] neg_lo:[0,1] neg_hi:[0,1]
	v_mov_b32_e32 v24, v17
	v_mbcnt_hi_u32_b32 v1, -1, v1
	v_pk_add_f32 v[28:29], v[16:17], v[24:25]
	v_pk_add_f32 v[16:17], v[16:17], v[24:25] neg_lo:[0,1] neg_hi:[0,1]
	v_mov_b32_e32 v24, v9
	v_and_b32_e32 v3, 64, v1
	v_pk_add_f32 v[30:31], v[8:9], v[24:25]
	v_pk_add_f32 v[8:9], v[8:9], v[24:25] neg_lo:[0,1] neg_hi:[0,1]
	v_mov_b32_e32 v24, v13
	v_add_u32_e32 v3, 64, v3
	v_xor_b32_e32 v5, 1, v1
	v_pk_add_f32 v[32:33], v[12:13], v[24:25]
	v_pk_add_f32 v[12:13], v[12:13], v[24:25] neg_lo:[0,1] neg_hi:[0,1]
	v_mov_b32_e32 v24, v21
	v_cmp_lt_i32_e64 s[2:3], v5, v3
	v_pk_add_f32 v[34:35], v[20:21], v[24:25]
	v_pk_add_f32 v[20:21], v[20:21], v[24:25] neg_lo:[0,1] neg_hi:[0,1]
	v_mov_b32_e32 v24, v7
	v_cndmask_b32_e64 v5, v1, v5, s[2:3]
	v_pk_add_f32 v[36:37], v[6:7], v[24:25]
	v_pk_add_f32 v[6:7], v[6:7], v[24:25] neg_lo:[0,1] neg_hi:[0,1]
	v_lshlrev_b32_e32 v5, 2, v5
	ds_bpermute_b32 v7, v5, v14
	v_and_b32_e32 v9, 1, v0
	v_cmp_eq_u32_e64 s[2:3], 0, v9
	v_cndmask_b32_e64 v9, -v14, v14, s[2:3]
	ds_bpermute_b32 v11, v5, v26
	s_waitcnt lgkmcnt(1)
	v_add_f32_e32 v7, v9, v7
	ds_bpermute_b32 v9, v5, v30
	v_cndmask_b32_e64 v13, -v26, v26, s[2:3]
	v_cndmask_b32_e64 v14, -v30, v30, s[2:3]
	s_waitcnt lgkmcnt(1)
	v_add_f32_e32 v11, v13, v11
	ds_bpermute_b32 v13, v5, v34
	s_waitcnt lgkmcnt(1)
	v_add_f32_e32 v9, v14, v9
	ds_bpermute_b32 v14, v5, v4
	v_cndmask_b32_e64 v15, -v34, v34, s[2:3]
	v_cndmask_b32_e64 v4, -v4, v4, s[2:3]
	s_waitcnt lgkmcnt(1)
	v_add_f32_e32 v13, v15, v13
	;; [unrolled: 8-line block ×6, first 2 shown]
	ds_bpermute_b32 v23, v5, v16
	s_waitcnt lgkmcnt(1)
	v_add_f32_e32 v2, v2, v22
	ds_bpermute_b32 v22, v5, v12
	ds_bpermute_b32 v5, v5, v6
	v_cndmask_b32_e64 v6, -v6, v6, s[2:3]
	v_cndmask_b32_e64 v16, -v16, v16, s[2:3]
	;; [unrolled: 1-line block ×3, first 2 shown]
	s_waitcnt lgkmcnt(1)
	v_add_f32_e32 v12, v12, v22
	s_waitcnt lgkmcnt(0)
	v_add_f32_e32 v5, v6, v5
	v_xor_b32_e32 v6, 2, v1
	v_cmp_lt_i32_e64 s[2:3], v6, v3
	v_cndmask_b32_e64 v6, v1, v6, s[2:3]
	v_lshlrev_b32_e32 v6, 2, v6
	ds_bpermute_b32 v22, v6, v7
	v_add_f32_e32 v16, v16, v23
	v_and_b32_e32 v23, 2, v0
	v_cmp_eq_u32_e64 s[2:3], 0, v23
	v_cndmask_b32_e64 v7, -v7, v7, s[2:3]
	s_waitcnt lgkmcnt(0)
	v_add_f32_e32 v7, v7, v22
	ds_bpermute_b32 v22, v6, v9
	v_cndmask_b32_e64 v9, -v9, v9, s[2:3]
	ds_bpermute_b32 v23, v6, v13
	v_cndmask_b32_e64 v13, -v13, v13, s[2:3]
	ds_bpermute_b32 v24, v6, v11
	s_waitcnt lgkmcnt(2)
	v_add_f32_e32 v9, v9, v22
	ds_bpermute_b32 v22, v6, v4
	v_cndmask_b32_e64 v4, -v4, v4, s[2:3]
	s_waitcnt lgkmcnt(2)
	v_add_f32_e32 v13, v13, v23
	ds_bpermute_b32 v23, v6, v10
	v_cndmask_b32_e64 v10, -v10, v10, s[2:3]
	;; [unrolled: 4-line block ×10, first 2 shown]
	s_waitcnt lgkmcnt(1)
	v_add_f32_e32 v2, v2, v22
	ds_bpermute_b32 v22, v6, v12
	ds_bpermute_b32 v6, v6, v5
	v_cndmask_b32_e64 v5, -v5, v5, s[2:3]
	v_cndmask_b32_e64 v16, -v16, v16, s[2:3]
	;; [unrolled: 1-line block ×3, first 2 shown]
	s_waitcnt lgkmcnt(1)
	v_add_f32_e32 v12, v12, v22
	s_waitcnt lgkmcnt(0)
	v_add_f32_e32 v5, v5, v6
	v_xor_b32_e32 v6, 4, v1
	v_cmp_lt_i32_e64 s[2:3], v6, v3
	v_cndmask_b32_e64 v6, v1, v6, s[2:3]
	v_lshlrev_b32_e32 v6, 2, v6
	ds_bpermute_b32 v22, v6, v7
	v_add_f32_e32 v16, v16, v23
	v_and_b32_e32 v23, 4, v0
	v_cmp_eq_u32_e64 s[2:3], 0, v23
	v_cndmask_b32_e64 v7, -v7, v7, s[2:3]
	s_waitcnt lgkmcnt(0)
	v_add_f32_e32 v7, v7, v22
	ds_bpermute_b32 v22, v6, v9
	ds_bpermute_b32 v23, v6, v13
	v_cndmask_b32_e64 v9, -v9, v9, s[2:3]
	v_cndmask_b32_e64 v13, -v13, v13, s[2:3]
	v_add_f32_e32 v11, v11, v24
	s_waitcnt lgkmcnt(1)
	v_add_f32_e32 v9, v9, v22
	ds_bpermute_b32 v22, v6, v4
	s_waitcnt lgkmcnt(1)
	v_add_f32_e32 v13, v13, v23
	ds_bpermute_b32 v23, v6, v10
	v_cndmask_b32_e64 v4, -v4, v4, s[2:3]
	ds_bpermute_b32 v24, v6, v11
	s_waitcnt lgkmcnt(2)
	v_add_f32_e32 v22, v4, v22
	ds_bpermute_b32 v4, v6, v8
	v_cndmask_b32_e64 v10, -v10, v10, s[2:3]
	v_cndmask_b32_e64 v11, -v11, v11, s[2:3]
	s_waitcnt lgkmcnt(2)
	v_add_f32_e32 v10, v10, v23
	ds_bpermute_b32 v23, v6, v15
	v_cndmask_b32_e64 v8, -v8, v8, s[2:3]
	s_waitcnt lgkmcnt(2)
	v_add_f32_e32 v11, v11, v24
	s_waitcnt lgkmcnt(1)
	v_add_f32_e32 v24, v8, v4
	ds_bpermute_b32 v4, v6, v14
	v_cndmask_b32_e64 v8, -v15, v15, s[2:3]
	s_waitcnt lgkmcnt(1)
	v_add_f32_e32 v15, v8, v23
	ds_bpermute_b32 v8, v6, v17
	v_cndmask_b32_e64 v14, -v14, v14, s[2:3]
	;; [unrolled: 4-line block ×5, first 2 shown]
	s_waitcnt lgkmcnt(1)
	v_add_f32_e32 v21, v21, v8
	v_cndmask_b32_e64 v2, -v2, v2, s[2:3]
	ds_bpermute_b32 v8, v6, v16
	s_waitcnt lgkmcnt(1)
	v_add_f32_e32 v23, v2, v4
	ds_bpermute_b32 v2, v6, v12
	v_cndmask_b32_e64 v4, -v16, v16, s[2:3]
	ds_bpermute_b32 v6, v6, v5
	s_waitcnt lgkmcnt(2)
	v_add_f32_e32 v25, v4, v8
	v_cndmask_b32_e64 v4, -v12, v12, s[2:3]
	s_waitcnt lgkmcnt(1)
	v_add_f32_e32 v30, v4, v2
	v_xor_b32_e32 v4, 8, v1
	v_cndmask_b32_e64 v2, -v5, v5, s[2:3]
	v_cmp_lt_i32_e64 s[2:3], v4, v3
	v_cndmask_b32_e64 v4, v1, v4, s[2:3]
	v_lshlrev_b32_e32 v32, 2, v4
	s_waitcnt lgkmcnt(0)
	v_add_f32_e32 v31, v2, v6
	v_and_b32_e32 v2, 8, v0
	ds_bpermute_b32 v4, v32, v11
	v_cmp_eq_u32_e64 s[2:3], 0, v2
	ds_bpermute_b32 v2, v32, v9
	v_cndmask_b32_e64 v5, -v11, v11, s[2:3]
	ds_bpermute_b32 v6, v32, v13
	s_waitcnt lgkmcnt(2)
	v_add_f32_e32 v4, v5, v4
	v_cndmask_b32_e64 v5, -v9, v9, s[2:3]
	s_waitcnt lgkmcnt(1)
	v_add_f32_e32 v5, v5, v2
	ds_bpermute_b32 v2, v32, v22
	ds_bpermute_b32 v26, v32, v7
	v_cndmask_b32_e64 v28, -v7, v7, s[2:3]
	v_cndmask_b32_e64 v7, -v13, v13, s[2:3]
	s_waitcnt lgkmcnt(2)
	v_add_f32_e32 v6, v7, v6
	v_cndmask_b32_e64 v7, -v22, v22, s[2:3]
	ds_bpermute_b32 v8, v32, v10
	s_waitcnt lgkmcnt(2)
	v_add_f32_e32 v7, v7, v2
	ds_bpermute_b32 v2, v32, v24
	v_cndmask_b32_e64 v9, -v10, v10, s[2:3]
	ds_bpermute_b32 v10, v32, v15
	s_waitcnt lgkmcnt(2)
	v_add_f32_e32 v8, v9, v8
	v_cndmask_b32_e64 v9, -v24, v24, s[2:3]
	s_waitcnt lgkmcnt(1)
	v_add_f32_e32 v9, v9, v2
	v_cndmask_b32_e64 v2, -v15, v15, s[2:3]
	s_waitcnt lgkmcnt(0)
	v_add_f32_e32 v2, v2, v10
	ds_bpermute_b32 v10, v32, v17
	ds_bpermute_b32 v11, v32, v20
	v_cndmask_b32_e64 v12, -v17, v17, s[2:3]
	v_cndmask_b32_e64 v13, -v20, v20, s[2:3]
	ds_bpermute_b32 v27, v32, v14
	s_waitcnt lgkmcnt(2)
	v_add_f32_e32 v12, v12, v10
	ds_bpermute_b32 v10, v32, v21
	v_cndmask_b32_e64 v29, -v14, v14, s[2:3]
	s_waitcnt lgkmcnt(2)
	v_add_f32_e32 v14, v13, v11
	ds_bpermute_b32 v11, v32, v23
	v_cndmask_b32_e64 v13, -v21, v21, s[2:3]
	s_waitcnt lgkmcnt(1)
	v_add_f32_e32 v16, v13, v10
	v_cndmask_b32_e64 v10, -v23, v23, s[2:3]
	ds_bpermute_b32 v13, v32, v25
	s_waitcnt lgkmcnt(1)
	v_add_f32_e32 v20, v10, v11
	ds_bpermute_b32 v10, v32, v30
	v_cndmask_b32_e64 v11, -v25, v25, s[2:3]
	ds_bpermute_b32 v15, v32, v31
	s_waitcnt lgkmcnt(2)
	v_add_f32_e32 v22, v11, v13
	v_cndmask_b32_e64 v11, -v30, v30, s[2:3]
	v_and_b32_e32 v30, 16, v0
	v_xor_b32_e32 v0, 16, v1
	s_waitcnt lgkmcnt(1)
	v_add_f32_e32 v24, v11, v10
	v_cndmask_b32_e64 v10, -v31, v31, s[2:3]
	v_cmp_lt_i32_e64 s[2:3], v0, v3
	v_cndmask_b32_e64 v0, v1, v0, s[2:3]
	v_lshlrev_b32_e32 v3, 2, v0
	v_pk_add_f32 v[0:1], v[28:29], v[26:27]
	ds_bpermute_b32 v26, v3, v0
	ds_bpermute_b32 v27, v3, v1
	v_cmp_eq_u32_e64 s[2:3], 0, v30
	s_waitcnt lgkmcnt(2)
	v_add_f32_e32 v10, v10, v15
	v_cndmask_b32_e64 v1, -v1, v1, s[2:3]
	v_cndmask_b32_e64 v0, -v0, v0, s[2:3]
	ds_bpermute_b32 v11, v3, v4
	ds_bpermute_b32 v13, v3, v5
	;; [unrolled: 1-line block ×7, first 2 shown]
	s_waitcnt lgkmcnt(7)
	v_pk_add_f32 v[0:1], v[0:1], v[26:27]
	ds_bpermute_b32 v32, v3, v12
	ds_bpermute_b32 v31, v3, v14
	;; [unrolled: 1-line block ×7, first 2 shown]
	v_add_f32_e32 v3, v0, v1
	v_mul_f32_e32 v33, s12, v3
	s_mov_b32 s4, 0x7f800000
	v_and_b32_e32 v3, 0x7f800000, v33
	v_cmp_ne_u32_e64 s[4:5], s4, v3
                                        ; implicit-def: $vgpr3
	s_and_saveexec_b64 s[8:9], s[4:5]
	s_xor_b64 s[4:5], exec, s[8:9]
; %bb.5:
	v_bfe_u32 v3, v33, 16, 1
	s_movk_i32 s8, 0x7fff
	v_add3_u32 v3, v33, v3, s8
                                        ; implicit-def: $vgpr33
; %bb.6:
	s_andn2_saveexec_b64 s[8:9], s[4:5]
; %bb.7:
	v_mov_b32_e32 v3, 0
	v_or_b32_e32 v34, 0x10000, v33
	v_cmp_eq_u32_sdwa s[4:5], v33, v3 src0_sel:WORD_0 src1_sel:DWORD
	v_cndmask_b32_e64 v3, v34, v33, s[4:5]
; %bb.8:
	s_or_b64 exec, exec, s[8:9]
	v_cndmask_b32_e64 v4, -v4, v4, s[2:3]
	s_waitcnt lgkmcnt(13)
	v_add_f32_e32 v11, v4, v11
	v_cndmask_b32_e64 v4, -v12, v12, s[2:3]
	s_waitcnt lgkmcnt(6)
	v_add_f32_e32 v12, v4, v32
	v_add_f32_e32 v4, v11, v12
	v_mul_f32_e32 v32, s12, v4
	s_mov_b32 s4, 0x7f800000
	v_and_b32_e32 v4, 0x7f800000, v32
	v_cmp_ne_u32_e64 s[4:5], s4, v4
                                        ; implicit-def: $vgpr4
	s_and_saveexec_b64 s[8:9], s[4:5]
	s_xor_b64 s[4:5], exec, s[8:9]
; %bb.9:
	v_bfe_u32 v4, v32, 16, 1
	s_movk_i32 s8, 0x7fff
	v_add3_u32 v4, v32, v4, s8
                                        ; implicit-def: $vgpr32
; %bb.10:
	s_andn2_saveexec_b64 s[8:9], s[4:5]
; %bb.11:
	v_mov_b32_e32 v4, 0
	v_or_b32_e32 v33, 0x10000, v32
	v_cmp_eq_u32_sdwa s[4:5], v32, v4 src0_sel:WORD_0 src1_sel:DWORD
	v_cndmask_b32_e64 v4, v33, v32, s[4:5]
; %bb.12:
	s_or_b64 exec, exec, s[8:9]
	v_cndmask_b32_e64 v5, -v5, v5, s[2:3]
	v_add_f32_e32 v13, v5, v13
	v_cndmask_b32_e64 v5, -v14, v14, s[2:3]
	s_waitcnt lgkmcnt(5)
	v_add_f32_e32 v14, v5, v31
	v_add_f32_e32 v5, v13, v14
	v_mul_f32_e32 v31, s12, v5
	s_mov_b32 s4, 0x7f800000
	v_and_b32_e32 v5, 0x7f800000, v31
	v_cmp_ne_u32_e64 s[4:5], s4, v5
                                        ; implicit-def: $vgpr5
	s_and_saveexec_b64 s[8:9], s[4:5]
	s_xor_b64 s[4:5], exec, s[8:9]
; %bb.13:
	v_bfe_u32 v5, v31, 16, 1
	s_movk_i32 s8, 0x7fff
	v_add3_u32 v5, v31, v5, s8
                                        ; implicit-def: $vgpr31
; %bb.14:
	s_andn2_saveexec_b64 s[8:9], s[4:5]
; %bb.15:
	v_mov_b32_e32 v5, 0
	v_or_b32_e32 v32, 0x10000, v31
	v_cmp_eq_u32_sdwa s[4:5], v31, v5 src0_sel:WORD_0 src1_sel:DWORD
	v_cndmask_b32_e64 v5, v32, v31, s[4:5]
; %bb.16:
	s_or_b64 exec, exec, s[8:9]
	v_cndmask_b32_e64 v6, -v6, v6, s[2:3]
	v_add_f32_e32 v15, v6, v15
	v_cndmask_b32_e64 v6, -v16, v16, s[2:3]
	s_waitcnt lgkmcnt(4)
	v_add_f32_e32 v16, v6, v30
	v_add_f32_e32 v6, v15, v16
	v_mul_f32_e32 v30, s12, v6
	s_mov_b32 s4, 0x7f800000
	v_and_b32_e32 v6, 0x7f800000, v30
	v_cmp_ne_u32_e64 s[4:5], s4, v6
                                        ; implicit-def: $vgpr6
	s_and_saveexec_b64 s[8:9], s[4:5]
	s_xor_b64 s[4:5], exec, s[8:9]
; %bb.17:
	v_bfe_u32 v6, v30, 16, 1
	s_movk_i32 s8, 0x7fff
	v_add3_u32 v6, v30, v6, s8
                                        ; implicit-def: $vgpr30
; %bb.18:
	s_andn2_saveexec_b64 s[8:9], s[4:5]
; %bb.19:
	v_mov_b32_e32 v6, 0
	v_or_b32_e32 v31, 0x10000, v30
	v_cmp_eq_u32_sdwa s[4:5], v30, v6 src0_sel:WORD_0 src1_sel:DWORD
	v_cndmask_b32_e64 v6, v31, v30, s[4:5]
; %bb.20:
	s_or_b64 exec, exec, s[8:9]
	v_cndmask_b32_e64 v7, -v7, v7, s[2:3]
	v_add_f32_e32 v17, v7, v17
	v_cndmask_b32_e64 v7, -v20, v20, s[2:3]
	s_waitcnt lgkmcnt(3)
	v_add_f32_e32 v20, v7, v29
	v_add_f32_e32 v7, v17, v20
	v_mul_f32_e32 v29, s12, v7
	s_mov_b32 s4, 0x7f800000
	v_and_b32_e32 v7, 0x7f800000, v29
	v_cmp_ne_u32_e64 s[4:5], s4, v7
                                        ; implicit-def: $vgpr7
	s_and_saveexec_b64 s[8:9], s[4:5]
	s_xor_b64 s[4:5], exec, s[8:9]
; %bb.21:
	v_bfe_u32 v7, v29, 16, 1
	s_movk_i32 s8, 0x7fff
	v_add3_u32 v7, v29, v7, s8
                                        ; implicit-def: $vgpr29
; %bb.22:
	s_andn2_saveexec_b64 s[8:9], s[4:5]
; %bb.23:
	v_mov_b32_e32 v7, 0
	v_or_b32_e32 v30, 0x10000, v29
	v_cmp_eq_u32_sdwa s[4:5], v29, v7 src0_sel:WORD_0 src1_sel:DWORD
	v_cndmask_b32_e64 v7, v30, v29, s[4:5]
; %bb.24:
	s_or_b64 exec, exec, s[8:9]
	v_cndmask_b32_e64 v8, -v8, v8, s[2:3]
	v_add_f32_e32 v21, v8, v21
	v_cndmask_b32_e64 v8, -v22, v22, s[2:3]
	s_waitcnt lgkmcnt(2)
	v_add_f32_e32 v22, v8, v28
	v_add_f32_e32 v8, v21, v22
	v_mul_f32_e32 v28, s12, v8
	s_mov_b32 s4, 0x7f800000
	v_and_b32_e32 v8, 0x7f800000, v28
	v_cmp_ne_u32_e64 s[4:5], s4, v8
                                        ; implicit-def: $vgpr8
	s_and_saveexec_b64 s[8:9], s[4:5]
	s_xor_b64 s[4:5], exec, s[8:9]
; %bb.25:
	v_bfe_u32 v8, v28, 16, 1
	s_movk_i32 s8, 0x7fff
	v_add3_u32 v8, v28, v8, s8
                                        ; implicit-def: $vgpr28
; %bb.26:
	s_andn2_saveexec_b64 s[8:9], s[4:5]
; %bb.27:
	v_mov_b32_e32 v8, 0
	v_or_b32_e32 v29, 0x10000, v28
	v_cmp_eq_u32_sdwa s[4:5], v28, v8 src0_sel:WORD_0 src1_sel:DWORD
	v_cndmask_b32_e64 v8, v29, v28, s[4:5]
; %bb.28:
	s_or_b64 exec, exec, s[8:9]
	v_cndmask_b32_e64 v9, -v9, v9, s[2:3]
	v_add_f32_e32 v23, v9, v23
	v_cndmask_b32_e64 v9, -v24, v24, s[2:3]
	s_waitcnt lgkmcnt(1)
	v_add_f32_e32 v24, v9, v27
	v_add_f32_e32 v9, v23, v24
	v_mul_f32_e32 v27, s12, v9
	s_mov_b32 s4, 0x7f800000
	v_and_b32_e32 v9, 0x7f800000, v27
	v_cmp_ne_u32_e64 s[4:5], s4, v9
                                        ; implicit-def: $vgpr9
	s_and_saveexec_b64 s[8:9], s[4:5]
	s_xor_b64 s[4:5], exec, s[8:9]
; %bb.29:
	v_bfe_u32 v9, v27, 16, 1
	s_movk_i32 s8, 0x7fff
	v_add3_u32 v9, v27, v9, s8
                                        ; implicit-def: $vgpr27
; %bb.30:
	s_andn2_saveexec_b64 s[8:9], s[4:5]
; %bb.31:
	v_mov_b32_e32 v9, 0
	v_or_b32_e32 v28, 0x10000, v27
	v_cmp_eq_u32_sdwa s[4:5], v27, v9 src0_sel:WORD_0 src1_sel:DWORD
	v_cndmask_b32_e64 v9, v28, v27, s[4:5]
; %bb.32:
	s_or_b64 exec, exec, s[8:9]
	v_cndmask_b32_e64 v2, -v2, v2, s[2:3]
	v_add_f32_e32 v25, v2, v25
	v_cndmask_b32_e64 v2, -v10, v10, s[2:3]
	s_waitcnt lgkmcnt(0)
	v_add_f32_e32 v26, v2, v26
	v_add_f32_e32 v2, v25, v26
	v_mul_f32_e32 v27, s12, v2
	s_mov_b32 s2, 0x7f800000
	v_and_b32_e32 v2, 0x7f800000, v27
	v_cmp_ne_u32_e64 s[2:3], s2, v2
                                        ; implicit-def: $vgpr10
	s_and_saveexec_b64 s[4:5], s[2:3]
	s_xor_b64 s[2:3], exec, s[4:5]
; %bb.33:
	v_bfe_u32 v2, v27, 16, 1
	s_movk_i32 s4, 0x7fff
	v_add3_u32 v10, v27, v2, s4
                                        ; implicit-def: $vgpr27
; %bb.34:
	s_or_saveexec_b64 s[4:5], s[2:3]
	v_mov_b32_e32 v2, v1
	s_xor_b64 exec, exec, s[4:5]
; %bb.35:
	v_mov_b32_e32 v1, 0
	v_or_b32_e32 v10, 0x10000, v27
	v_cmp_eq_u32_sdwa s[2:3], v27, v1 src0_sel:WORD_0 src1_sel:DWORD
	v_cndmask_b32_e64 v10, v10, v27, s[2:3]
; %bb.36:
	s_or_b64 exec, exec, s[4:5]
	v_sub_f32_e32 v0, v0, v2
	v_mul_f32_e32 v1, s12, v0
	s_mov_b32 s2, 0x7f800000
	v_and_b32_e32 v0, 0x7f800000, v1
	v_cmp_ne_u32_e64 s[2:3], s2, v0
                                        ; implicit-def: $vgpr0
	s_and_saveexec_b64 s[4:5], s[2:3]
	s_xor_b64 s[2:3], exec, s[4:5]
; %bb.37:
	v_bfe_u32 v0, v1, 16, 1
	s_movk_i32 s4, 0x7fff
	v_add3_u32 v0, v1, v0, s4
                                        ; implicit-def: $vgpr1
; %bb.38:
	s_andn2_saveexec_b64 s[4:5], s[2:3]
; %bb.39:
	v_mov_b32_e32 v0, 0
	v_or_b32_e32 v2, 0x10000, v1
	v_cmp_eq_u32_sdwa s[2:3], v1, v0 src0_sel:WORD_0 src1_sel:DWORD
	v_cndmask_b32_e64 v0, v2, v1, s[2:3]
; %bb.40:
	s_or_b64 exec, exec, s[4:5]
	v_sub_f32_e32 v1, v11, v12
	v_mul_f32_e32 v2, s12, v1
	s_mov_b32 s2, 0x7f800000
	v_and_b32_e32 v1, 0x7f800000, v2
	v_cmp_ne_u32_e64 s[2:3], s2, v1
                                        ; implicit-def: $vgpr1
	s_and_saveexec_b64 s[4:5], s[2:3]
	s_xor_b64 s[2:3], exec, s[4:5]
; %bb.41:
	v_bfe_u32 v1, v2, 16, 1
	s_movk_i32 s4, 0x7fff
	v_add3_u32 v1, v2, v1, s4
                                        ; implicit-def: $vgpr2
; %bb.42:
	s_andn2_saveexec_b64 s[4:5], s[2:3]
; %bb.43:
	v_mov_b32_e32 v1, 0
	v_or_b32_e32 v11, 0x10000, v2
	v_cmp_eq_u32_sdwa s[2:3], v2, v1 src0_sel:WORD_0 src1_sel:DWORD
	v_cndmask_b32_e64 v1, v11, v2, s[2:3]
; %bb.44:
	s_or_b64 exec, exec, s[4:5]
	v_sub_f32_e32 v2, v13, v14
	v_mul_f32_e32 v11, s12, v2
	s_mov_b32 s2, 0x7f800000
	v_and_b32_e32 v2, 0x7f800000, v11
	v_cmp_ne_u32_e64 s[2:3], s2, v2
                                        ; implicit-def: $vgpr2
	s_and_saveexec_b64 s[4:5], s[2:3]
	s_xor_b64 s[2:3], exec, s[4:5]
; %bb.45:
	v_bfe_u32 v2, v11, 16, 1
	s_movk_i32 s4, 0x7fff
	v_add3_u32 v2, v11, v2, s4
                                        ; implicit-def: $vgpr11
; %bb.46:
	s_andn2_saveexec_b64 s[4:5], s[2:3]
; %bb.47:
	v_mov_b32_e32 v2, 0
	v_or_b32_e32 v12, 0x10000, v11
	v_cmp_eq_u32_sdwa s[2:3], v11, v2 src0_sel:WORD_0 src1_sel:DWORD
	v_cndmask_b32_e64 v2, v12, v11, s[2:3]
; %bb.48:
	s_or_b64 exec, exec, s[4:5]
	v_sub_f32_e32 v11, v15, v16
	v_mul_f32_e32 v12, s12, v11
	s_mov_b32 s2, 0x7f800000
	v_and_b32_e32 v11, 0x7f800000, v12
	v_cmp_ne_u32_e64 s[2:3], s2, v11
                                        ; implicit-def: $vgpr11
	s_and_saveexec_b64 s[4:5], s[2:3]
	s_xor_b64 s[2:3], exec, s[4:5]
; %bb.49:
	v_bfe_u32 v11, v12, 16, 1
	s_movk_i32 s4, 0x7fff
	v_add3_u32 v11, v12, v11, s4
                                        ; implicit-def: $vgpr12
; %bb.50:
	s_andn2_saveexec_b64 s[4:5], s[2:3]
; %bb.51:
	v_mov_b32_e32 v11, 0
	v_or_b32_e32 v13, 0x10000, v12
	v_cmp_eq_u32_sdwa s[2:3], v12, v11 src0_sel:WORD_0 src1_sel:DWORD
	v_cndmask_b32_e64 v11, v13, v12, s[2:3]
; %bb.52:
	s_or_b64 exec, exec, s[4:5]
	v_sub_f32_e32 v12, v17, v20
	v_mul_f32_e32 v13, s12, v12
	s_mov_b32 s2, 0x7f800000
	v_and_b32_e32 v12, 0x7f800000, v13
	v_cmp_ne_u32_e64 s[2:3], s2, v12
                                        ; implicit-def: $vgpr12
	s_and_saveexec_b64 s[4:5], s[2:3]
	s_xor_b64 s[2:3], exec, s[4:5]
; %bb.53:
	v_bfe_u32 v12, v13, 16, 1
	s_movk_i32 s4, 0x7fff
	v_add3_u32 v12, v13, v12, s4
                                        ; implicit-def: $vgpr13
; %bb.54:
	s_andn2_saveexec_b64 s[4:5], s[2:3]
; %bb.55:
	v_mov_b32_e32 v12, 0
	v_or_b32_e32 v14, 0x10000, v13
	v_cmp_eq_u32_sdwa s[2:3], v13, v12 src0_sel:WORD_0 src1_sel:DWORD
	v_cndmask_b32_e64 v12, v14, v13, s[2:3]
; %bb.56:
	s_or_b64 exec, exec, s[4:5]
	v_sub_f32_e32 v13, v21, v22
	v_mul_f32_e32 v14, s12, v13
	s_mov_b32 s2, 0x7f800000
	v_and_b32_e32 v13, 0x7f800000, v14
	v_cmp_ne_u32_e64 s[2:3], s2, v13
                                        ; implicit-def: $vgpr13
	s_and_saveexec_b64 s[4:5], s[2:3]
	s_xor_b64 s[2:3], exec, s[4:5]
; %bb.57:
	v_bfe_u32 v13, v14, 16, 1
	s_movk_i32 s4, 0x7fff
	v_add3_u32 v13, v14, v13, s4
                                        ; implicit-def: $vgpr14
; %bb.58:
	s_andn2_saveexec_b64 s[4:5], s[2:3]
; %bb.59:
	v_mov_b32_e32 v13, 0
	v_or_b32_e32 v15, 0x10000, v14
	v_cmp_eq_u32_sdwa s[2:3], v14, v13 src0_sel:WORD_0 src1_sel:DWORD
	v_cndmask_b32_e64 v13, v15, v14, s[2:3]
; %bb.60:
	s_or_b64 exec, exec, s[4:5]
	v_sub_f32_e32 v14, v23, v24
	v_mul_f32_e32 v15, s12, v14
	s_mov_b32 s2, 0x7f800000
	v_and_b32_e32 v14, 0x7f800000, v15
	v_cmp_ne_u32_e64 s[2:3], s2, v14
                                        ; implicit-def: $vgpr14
	s_and_saveexec_b64 s[4:5], s[2:3]
	s_xor_b64 s[2:3], exec, s[4:5]
; %bb.61:
	v_bfe_u32 v14, v15, 16, 1
	s_movk_i32 s4, 0x7fff
	v_add3_u32 v14, v15, v14, s4
                                        ; implicit-def: $vgpr15
; %bb.62:
	s_andn2_saveexec_b64 s[4:5], s[2:3]
; %bb.63:
	v_mov_b32_e32 v14, 0
	v_or_b32_e32 v16, 0x10000, v15
	v_cmp_eq_u32_sdwa s[2:3], v15, v14 src0_sel:WORD_0 src1_sel:DWORD
	v_cndmask_b32_e64 v14, v16, v15, s[2:3]
; %bb.64:
	s_or_b64 exec, exec, s[4:5]
	v_sub_f32_e32 v15, v25, v26
	v_mul_f32_e32 v16, s12, v15
	s_mov_b32 s2, 0x7f800000
	v_and_b32_e32 v15, 0x7f800000, v16
	v_cmp_ne_u32_e64 s[2:3], s2, v15
                                        ; implicit-def: $vgpr15
	s_and_saveexec_b64 s[4:5], s[2:3]
	s_xor_b64 s[2:3], exec, s[4:5]
; %bb.65:
	v_bfe_u32 v15, v16, 16, 1
	s_movk_i32 s4, 0x7fff
	v_add3_u32 v15, v16, v15, s4
                                        ; implicit-def: $vgpr16
; %bb.66:
	s_andn2_saveexec_b64 s[4:5], s[2:3]
; %bb.67:
	v_mov_b32_e32 v15, 0
	v_or_b32_e32 v17, 0x10000, v16
	v_cmp_eq_u32_sdwa s[2:3], v16, v15 src0_sel:WORD_0 src1_sel:DWORD
	v_cndmask_b32_e64 v15, v17, v16, s[2:3]
; %bb.68:
	s_or_b64 exec, exec, s[4:5]
	s_mul_i32 s2, s10, s7
	s_mul_hi_u32 s3, s10, s6
	s_add_i32 s2, s3, s2
	s_mul_i32 s3, s11, s6
	s_add_i32 s3, s2, s3
	s_mul_i32 s2, s10, s6
	s_lshl_b64 s[2:3], s[2:3], 1
	s_add_u32 s2, s14, s2
	s_addc_u32 s3, s15, s3
	s_and_saveexec_b64 s[4:5], vcc
	s_cbranch_execnz .LBB32_71
; %bb.69:
	s_or_b64 exec, exec, s[4:5]
	s_and_saveexec_b64 s[4:5], s[0:1]
	s_cbranch_execnz .LBB32_72
.LBB32_70:
	s_endpgm
.LBB32_71:
	s_mov_b32 s6, 0x7060302
	v_perm_b32 v9, v10, v9, s6
	v_perm_b32 v8, v8, v7, s6
	;; [unrolled: 1-line block ×4, first 2 shown]
	global_store_dwordx4 v18, v[6:9], s[2:3]
	s_or_b64 exec, exec, s[4:5]
	s_and_saveexec_b64 s[4:5], s[0:1]
	s_cbranch_execz .LBB32_70
.LBB32_72:
	s_mov_b32 s0, 0x7060302
	v_perm_b32 v5, v15, v14, s0
	v_perm_b32 v4, v13, v12, s0
	;; [unrolled: 1-line block ×4, first 2 shown]
	global_store_dwordx4 v19, v[2:5], s[2:3]
	s_endpgm
	.section	.rodata,"a",@progbits
	.p2align	6, 0x0
	.amdhsa_kernel _Z30fast_hadamard_transform_kernelI37fast_hadamard_transform_kernel_traitsILi32ELi9E14__hip_bfloat16EEv18HadamardParamsBase
		.amdhsa_group_segment_fixed_size 0
		.amdhsa_private_segment_fixed_size 0
		.amdhsa_kernarg_size 312
		.amdhsa_user_sgpr_count 6
		.amdhsa_user_sgpr_private_segment_buffer 1
		.amdhsa_user_sgpr_dispatch_ptr 0
		.amdhsa_user_sgpr_queue_ptr 0
		.amdhsa_user_sgpr_kernarg_segment_ptr 1
		.amdhsa_user_sgpr_dispatch_id 0
		.amdhsa_user_sgpr_flat_scratch_init 0
		.amdhsa_user_sgpr_kernarg_preload_length 0
		.amdhsa_user_sgpr_kernarg_preload_offset 0
		.amdhsa_user_sgpr_private_segment_size 0
		.amdhsa_uses_dynamic_stack 0
		.amdhsa_system_sgpr_private_segment_wavefront_offset 0
		.amdhsa_system_sgpr_workgroup_id_x 1
		.amdhsa_system_sgpr_workgroup_id_y 0
		.amdhsa_system_sgpr_workgroup_id_z 0
		.amdhsa_system_sgpr_workgroup_info 0
		.amdhsa_system_vgpr_workitem_id 0
		.amdhsa_next_free_vgpr 38
		.amdhsa_next_free_sgpr 17
		.amdhsa_accum_offset 40
		.amdhsa_reserve_vcc 1
		.amdhsa_reserve_flat_scratch 0
		.amdhsa_float_round_mode_32 0
		.amdhsa_float_round_mode_16_64 0
		.amdhsa_float_denorm_mode_32 3
		.amdhsa_float_denorm_mode_16_64 3
		.amdhsa_dx10_clamp 1
		.amdhsa_ieee_mode 1
		.amdhsa_fp16_overflow 0
		.amdhsa_tg_split 0
		.amdhsa_exception_fp_ieee_invalid_op 0
		.amdhsa_exception_fp_denorm_src 0
		.amdhsa_exception_fp_ieee_div_zero 0
		.amdhsa_exception_fp_ieee_overflow 0
		.amdhsa_exception_fp_ieee_underflow 0
		.amdhsa_exception_fp_ieee_inexact 0
		.amdhsa_exception_int_div_zero 0
	.end_amdhsa_kernel
	.section	.text._Z30fast_hadamard_transform_kernelI37fast_hadamard_transform_kernel_traitsILi32ELi9E14__hip_bfloat16EEv18HadamardParamsBase,"axG",@progbits,_Z30fast_hadamard_transform_kernelI37fast_hadamard_transform_kernel_traitsILi32ELi9E14__hip_bfloat16EEv18HadamardParamsBase,comdat
.Lfunc_end32:
	.size	_Z30fast_hadamard_transform_kernelI37fast_hadamard_transform_kernel_traitsILi32ELi9E14__hip_bfloat16EEv18HadamardParamsBase, .Lfunc_end32-_Z30fast_hadamard_transform_kernelI37fast_hadamard_transform_kernel_traitsILi32ELi9E14__hip_bfloat16EEv18HadamardParamsBase
                                        ; -- End function
	.section	.AMDGPU.csdata,"",@progbits
; Kernel info:
; codeLenInByte = 4416
; NumSgprs: 21
; NumVgprs: 38
; NumAgprs: 0
; TotalNumVgprs: 38
; ScratchSize: 0
; MemoryBound: 0
; FloatMode: 240
; IeeeMode: 1
; LDSByteSize: 0 bytes/workgroup (compile time only)
; SGPRBlocks: 2
; VGPRBlocks: 4
; NumSGPRsForWavesPerEU: 21
; NumVGPRsForWavesPerEU: 38
; AccumOffset: 40
; Occupancy: 8
; WaveLimiterHint : 0
; COMPUTE_PGM_RSRC2:SCRATCH_EN: 0
; COMPUTE_PGM_RSRC2:USER_SGPR: 6
; COMPUTE_PGM_RSRC2:TRAP_HANDLER: 0
; COMPUTE_PGM_RSRC2:TGID_X_EN: 1
; COMPUTE_PGM_RSRC2:TGID_Y_EN: 0
; COMPUTE_PGM_RSRC2:TGID_Z_EN: 0
; COMPUTE_PGM_RSRC2:TIDIG_COMP_CNT: 0
; COMPUTE_PGM_RSRC3_GFX90A:ACCUM_OFFSET: 9
; COMPUTE_PGM_RSRC3_GFX90A:TG_SPLIT: 0
	.section	.text._Z30fast_hadamard_transform_kernelI37fast_hadamard_transform_kernel_traitsILi128ELi10E14__hip_bfloat16EEv18HadamardParamsBase,"axG",@progbits,_Z30fast_hadamard_transform_kernelI37fast_hadamard_transform_kernel_traitsILi128ELi10E14__hip_bfloat16EEv18HadamardParamsBase,comdat
	.protected	_Z30fast_hadamard_transform_kernelI37fast_hadamard_transform_kernel_traitsILi128ELi10E14__hip_bfloat16EEv18HadamardParamsBase ; -- Begin function _Z30fast_hadamard_transform_kernelI37fast_hadamard_transform_kernel_traitsILi128ELi10E14__hip_bfloat16EEv18HadamardParamsBase
	.globl	_Z30fast_hadamard_transform_kernelI37fast_hadamard_transform_kernel_traitsILi128ELi10E14__hip_bfloat16EEv18HadamardParamsBase
	.p2align	8
	.type	_Z30fast_hadamard_transform_kernelI37fast_hadamard_transform_kernel_traitsILi128ELi10E14__hip_bfloat16EEv18HadamardParamsBase,@function
_Z30fast_hadamard_transform_kernelI37fast_hadamard_transform_kernel_traitsILi128ELi10E14__hip_bfloat16EEv18HadamardParamsBase: ; @_Z30fast_hadamard_transform_kernelI37fast_hadamard_transform_kernel_traitsILi128ELi10E14__hip_bfloat16EEv18HadamardParamsBase
; %bb.0:
	s_load_dword s0, s[4:5], 0x4
	s_load_dword s10, s[4:5], 0x20
	v_lshlrev_b32_e32 v1, 3, v0
	v_mov_b32_e32 v2, 0
	s_ashr_i32 s7, s6, 31
	s_waitcnt lgkmcnt(0)
	v_cmp_gt_u32_e32 vcc, s0, v1
	v_lshlrev_b32_e32 v10, 4, v0
	v_mov_b32_e32 v4, 0
	v_mov_b32_e32 v6, 0
	;; [unrolled: 1-line block ×7, first 2 shown]
	s_and_saveexec_b64 s[0:1], vcc
	s_cbranch_execz .LBB33_2
; %bb.1:
	s_load_dwordx2 s[2:3], s[4:5], 0x10
	s_load_dwordx2 s[8:9], s[4:5], 0x28
	s_waitcnt lgkmcnt(0)
	s_mul_i32 s11, s2, s7
	s_mul_hi_u32 s12, s2, s6
	s_mul_i32 s3, s3, s6
	s_add_i32 s11, s12, s11
	s_mul_i32 s2, s2, s6
	s_add_i32 s3, s11, s3
	s_lshl_b64 s[2:3], s[2:3], 1
	s_add_u32 s2, s8, s2
	s_addc_u32 s3, s9, s3
	global_load_dwordx4 v[12:15], v10, s[2:3]
	s_waitcnt vmcnt(0)
	v_and_b32_e32 v9, 0xffff0000, v12
	v_lshlrev_b32_e32 v7, 16, v12
	v_and_b32_e32 v5, 0xffff0000, v13
	v_lshlrev_b32_e32 v3, 16, v13
	;; [unrolled: 2-line block ×4, first 2 shown]
.LBB33_2:
	s_or_b64 exec, exec, s[0:1]
	v_pk_add_f32 v[12:13], v[8:9], v[6:7]
	v_pk_add_f32 v[14:15], v[4:5], v[2:3]
	v_pk_add_f32 v[6:7], v[6:7], v[8:9] neg_lo:[0,1] neg_hi:[0,1]
	v_pk_add_f32 v[2:3], v[2:3], v[4:5] neg_lo:[0,1] neg_hi:[0,1]
	v_pk_add_f32 v[16:17], v[14:15], v[12:13]
	v_pk_add_f32 v[4:5], v[2:3], v[6:7]
	v_pk_add_f32 v[12:13], v[12:13], v[14:15] neg_lo:[0,1] neg_hi:[0,1]
	v_pk_add_f32 v[2:3], v[6:7], v[2:3] neg_lo:[0,1] neg_hi:[0,1]
	v_mov_b32_e32 v6, v17
	v_mov_b32_e32 v14, v5
	v_pk_add_f32 v[8:9], v[16:17], v[6:7]
	v_pk_add_f32 v[6:7], v[6:7], v[16:17] neg_lo:[0,1] neg_hi:[0,1]
	v_pk_add_f32 v[16:17], v[4:5], v[14:15]
	v_pk_add_f32 v[4:5], v[14:15], v[4:5] neg_lo:[0,1] neg_hi:[0,1]
	v_mov_b32_e32 v14, v13
	v_pk_add_f32 v[18:19], v[12:13], v[14:15]
	v_pk_add_f32 v[12:13], v[14:15], v[12:13] neg_lo:[0,1] neg_hi:[0,1]
	v_mov_b32_e32 v14, v3
	v_mbcnt_lo_u32_b32 v1, -1, 0
	v_pk_add_f32 v[20:21], v[2:3], v[14:15]
	v_pk_add_f32 v[2:3], v[14:15], v[2:3] neg_lo:[0,1] neg_hi:[0,1]
	v_mbcnt_hi_u32_b32 v1, -1, v1
	v_and_b32_e32 v3, 64, v1
	v_add_u32_e32 v11, 64, v3
	v_xor_b32_e32 v3, 1, v1
	v_cmp_lt_i32_e64 s[0:1], v3, v11
	v_cndmask_b32_e64 v3, v1, v3, s[0:1]
	v_lshlrev_b32_e32 v21, 2, v3
	ds_bpermute_b32 v3, v21, v8
	v_and_b32_e32 v22, 1, v0
	v_cmp_eq_u32_e64 s[0:1], 0, v22
	v_cndmask_b32_e64 v7, -v8, v8, s[0:1]
	ds_bpermute_b32 v5, v21, v16
	s_waitcnt lgkmcnt(1)
	v_add_f32_e32 v3, v7, v3
	ds_bpermute_b32 v7, v21, v18
	v_cndmask_b32_e64 v9, -v18, v18, s[0:1]
	v_cndmask_b32_e64 v8, -v16, v16, s[0:1]
	s_waitcnt lgkmcnt(1)
	v_add_f32_e32 v5, v8, v5
	ds_bpermute_b32 v8, v21, v20
	s_waitcnt lgkmcnt(1)
	v_add_f32_e32 v7, v9, v7
	ds_bpermute_b32 v9, v21, v6
	v_cndmask_b32_e64 v6, -v6, v6, s[0:1]
	v_cndmask_b32_e64 v13, -v20, v20, s[0:1]
	s_waitcnt lgkmcnt(1)
	v_add_f32_e32 v8, v13, v8
	ds_bpermute_b32 v13, v21, v4
	s_waitcnt lgkmcnt(1)
	v_add_f32_e32 v6, v6, v9
	ds_bpermute_b32 v9, v21, v12
	v_cndmask_b32_e64 v12, -v12, v12, s[0:1]
	ds_bpermute_b32 v14, v21, v2
	v_cndmask_b32_e64 v4, -v4, v4, s[0:1]
	s_waitcnt lgkmcnt(2)
	v_add_f32_e32 v4, v4, v13
	s_waitcnt lgkmcnt(1)
	v_add_f32_e32 v9, v12, v9
	v_xor_b32_e32 v12, 2, v1
	v_cmp_lt_i32_e64 s[2:3], v12, v11
	v_cndmask_b32_e64 v12, v1, v12, s[2:3]
	v_lshlrev_b32_e32 v12, 2, v12
	ds_bpermute_b32 v13, v12, v3
	v_cndmask_b32_e64 v2, -v2, v2, s[0:1]
	s_waitcnt lgkmcnt(1)
	v_add_f32_e32 v2, v2, v14
	v_and_b32_e32 v14, 2, v0
	v_cmp_eq_u32_e64 s[2:3], 0, v14
	v_cndmask_b32_e64 v3, -v3, v3, s[2:3]
	s_waitcnt lgkmcnt(0)
	v_add_f32_e32 v3, v3, v13
	ds_bpermute_b32 v13, v12, v7
	v_cndmask_b32_e64 v7, -v7, v7, s[2:3]
	ds_bpermute_b32 v14, v12, v8
	v_cndmask_b32_e64 v8, -v8, v8, s[2:3]
	ds_bpermute_b32 v15, v12, v5
	s_waitcnt lgkmcnt(2)
	v_add_f32_e32 v7, v7, v13
	ds_bpermute_b32 v13, v12, v6
	v_cndmask_b32_e64 v6, -v6, v6, s[2:3]
	s_waitcnt lgkmcnt(2)
	v_add_f32_e32 v8, v8, v14
	ds_bpermute_b32 v14, v12, v4
	v_cndmask_b32_e64 v5, -v5, v5, s[2:3]
	s_waitcnt lgkmcnt(1)
	v_add_f32_e32 v6, v6, v13
	ds_bpermute_b32 v13, v12, v9
	ds_bpermute_b32 v12, v12, v2
	v_cndmask_b32_e64 v2, -v2, v2, s[2:3]
	v_cndmask_b32_e64 v4, -v4, v4, s[2:3]
	;; [unrolled: 1-line block ×3, first 2 shown]
	s_waitcnt lgkmcnt(1)
	v_add_f32_e32 v9, v9, v13
	s_waitcnt lgkmcnt(0)
	v_add_f32_e32 v2, v2, v12
	v_xor_b32_e32 v12, 4, v1
	v_cmp_lt_i32_e64 s[2:3], v12, v11
	v_cndmask_b32_e64 v12, v1, v12, s[2:3]
	v_lshlrev_b32_e32 v12, 2, v12
	ds_bpermute_b32 v13, v12, v3
	v_add_f32_e32 v4, v4, v14
	v_and_b32_e32 v14, 4, v0
	v_cmp_eq_u32_e64 s[2:3], 0, v14
	v_cndmask_b32_e64 v3, -v3, v3, s[2:3]
	s_waitcnt lgkmcnt(0)
	v_add_f32_e32 v3, v3, v13
	ds_bpermute_b32 v13, v12, v7
	v_cndmask_b32_e64 v7, -v7, v7, s[2:3]
	ds_bpermute_b32 v14, v12, v8
	v_add_f32_e32 v5, v5, v15
	v_cndmask_b32_e64 v8, -v8, v8, s[2:3]
	s_waitcnt lgkmcnt(1)
	v_add_f32_e32 v7, v7, v13
	ds_bpermute_b32 v13, v12, v6
	v_cndmask_b32_e64 v6, -v6, v6, s[2:3]
	ds_bpermute_b32 v15, v12, v5
	s_waitcnt lgkmcnt(2)
	v_add_f32_e32 v14, v8, v14
	ds_bpermute_b32 v8, v12, v4
	s_waitcnt lgkmcnt(2)
	v_add_f32_e32 v13, v6, v13
	ds_bpermute_b32 v6, v12, v9
	ds_bpermute_b32 v12, v12, v2
	v_cndmask_b32_e64 v2, -v2, v2, s[2:3]
	v_cndmask_b32_e64 v5, -v5, v5, s[2:3]
	;; [unrolled: 1-line block ×3, first 2 shown]
	s_waitcnt lgkmcnt(3)
	v_add_f32_e32 v5, v5, v15
	s_waitcnt lgkmcnt(0)
	v_add_f32_e32 v19, v2, v12
	v_xor_b32_e32 v2, 8, v1
	v_add_f32_e32 v15, v4, v8
	v_cndmask_b32_e64 v4, -v9, v9, s[2:3]
	v_cmp_lt_i32_e64 s[2:3], v2, v11
	v_add_f32_e32 v17, v4, v6
	v_and_b32_e32 v4, 8, v0
	v_cndmask_b32_e64 v2, v1, v2, s[2:3]
	v_lshlrev_b32_e32 v20, 2, v2
	v_cmp_eq_u32_e64 s[2:3], 0, v4
	ds_bpermute_b32 v2, v20, v3
	v_cndmask_b32_e64 v4, -v3, v3, s[2:3]
	ds_bpermute_b32 v3, v20, v5
	v_xor_b32_e32 v23, 16, v1
	v_cndmask_b32_e64 v5, -v5, v5, s[2:3]
	ds_bpermute_b32 v6, v20, v7
	v_cndmask_b32_e64 v8, -v7, v7, s[2:3]
	ds_bpermute_b32 v7, v20, v14
	;; [unrolled: 2-line block ×6, first 2 shown]
	v_cndmask_b32_e64 v19, -v19, v19, s[2:3]
	v_cmp_lt_i32_e64 s[2:3], v23, v11
	v_cndmask_b32_e64 v23, v1, v23, s[2:3]
	v_lshlrev_b32_e32 v23, 2, v23
	s_waitcnt lgkmcnt(6)
	v_pk_add_f32 v[2:3], v[4:5], v[2:3]
	ds_bpermute_b32 v4, v23, v2
	ds_bpermute_b32 v5, v23, v3
	v_xor_b32_e32 v25, 32, v1
	v_and_b32_e32 v20, 16, v0
	v_cmp_lt_i32_e64 s[2:3], v25, v11
	v_cndmask_b32_e64 v1, v1, v25, s[2:3]
	v_cmp_eq_u32_e64 s[2:3], 0, v20
	v_cndmask_b32_e64 v3, -v3, v3, s[2:3]
	v_cndmask_b32_e64 v2, -v2, v2, s[2:3]
	v_lshlrev_b32_e32 v1, 2, v1
	s_waitcnt lgkmcnt(0)
	v_pk_add_f32 v[2:3], v[2:3], v[4:5]
	ds_bpermute_b32 v4, v1, v2
	ds_bpermute_b32 v5, v1, v3
	v_pk_add_f32 v[6:7], v[8:9], v[6:7]
	ds_bpermute_b32 v8, v23, v6
	ds_bpermute_b32 v9, v23, v7
	v_and_b32_e32 v24, 32, v0
	v_cmp_eq_u32_e64 s[8:9], 0, v24
	v_cndmask_b32_e64 v3, -v3, v3, s[8:9]
	v_cndmask_b32_e64 v2, -v2, v2, s[8:9]
	s_waitcnt lgkmcnt(2)
	v_pk_add_f32 v[2:3], v[2:3], v[4:5]
	v_cndmask_b32_e64 v5, -v7, v7, s[2:3]
	v_cndmask_b32_e64 v4, -v6, v6, s[2:3]
	s_waitcnt lgkmcnt(0)
	v_pk_add_f32 v[4:5], v[4:5], v[8:9]
	ds_bpermute_b32 v6, v1, v4
	ds_bpermute_b32 v7, v1, v5
	v_lshrrev_b32_e32 v11, 6, v0
	v_xor_b32_e32 v11, v11, v0
	v_cndmask_b32_e64 v5, -v5, v5, s[8:9]
	v_cndmask_b32_e64 v4, -v4, v4, s[8:9]
	v_pk_add_f32 v[8:9], v[14:15], v[12:13]
	v_lshl_add_u32 v11, v11, 4, 0
	ds_bpermute_b32 v12, v23, v8
	ds_bpermute_b32 v13, v23, v9
	s_waitcnt lgkmcnt(2)
	v_pk_add_f32 v[4:5], v[4:5], v[6:7]
	v_pk_add_f32 v[6:7], v[18:19], v[16:17]
	s_waitcnt lgkmcnt(0)
	s_barrier
	ds_write_b128 v11, v[2:5]
	v_cndmask_b32_e64 v3, -v9, v9, s[2:3]
	v_cndmask_b32_e64 v2, -v8, v8, s[2:3]
	ds_bpermute_b32 v8, v23, v6
	ds_bpermute_b32 v9, v23, v7
	v_pk_add_f32 v[2:3], v[2:3], v[12:13]
	v_cndmask_b32_e64 v7, -v7, v7, s[2:3]
	v_cndmask_b32_e64 v6, -v6, v6, s[2:3]
	ds_bpermute_b32 v4, v1, v2
	ds_bpermute_b32 v5, v1, v3
	s_waitcnt lgkmcnt(2)
	v_pk_add_f32 v[6:7], v[6:7], v[8:9]
	ds_bpermute_b32 v8, v1, v6
	ds_bpermute_b32 v9, v1, v7
	v_lshrrev_b32_e32 v0, 1, v0
	v_cndmask_b32_e64 v3, -v3, v3, s[8:9]
	v_cndmask_b32_e64 v2, -v2, v2, s[8:9]
	v_lshl_or_b32 v0, v22, 6, v0
	s_waitcnt lgkmcnt(2)
	v_pk_add_f32 v[2:3], v[2:3], v[4:5]
	v_cndmask_b32_e64 v5, -v7, v7, s[8:9]
	v_cndmask_b32_e64 v4, -v6, v6, s[8:9]
	v_xor_b32_e32 v0, v0, v22
	s_waitcnt lgkmcnt(0)
	v_pk_add_f32 v[4:5], v[4:5], v[8:9]
	v_lshl_add_u32 v18, v0, 4, 0
	ds_write_b128 v11, v[2:5] offset:2048
	s_waitcnt lgkmcnt(0)
	s_barrier
	ds_read_b128 v[0:3], v18
	ds_read_b128 v[4:7], v18 offset:2048
	s_waitcnt lgkmcnt(0)
	s_barrier
	ds_bpermute_b32 v8, v21, v0
	ds_bpermute_b32 v9, v21, v1
	ds_bpermute_b32 v12, v21, v2
	ds_bpermute_b32 v13, v21, v3
	ds_bpermute_b32 v14, v21, v4
	ds_bpermute_b32 v15, v21, v5
	ds_bpermute_b32 v16, v21, v6
	ds_bpermute_b32 v17, v21, v7
	v_cndmask_b32_e64 v1, -v1, v1, s[0:1]
	v_cndmask_b32_e64 v0, -v0, v0, s[0:1]
	;; [unrolled: 1-line block ×4, first 2 shown]
	s_waitcnt lgkmcnt(4)
	v_pk_add_f32 v[2:3], v[2:3], v[12:13]
	v_pk_add_f32 v[0:1], v[0:1], v[8:9]
	ds_write_b128 v18, v[0:3]
	v_cndmask_b32_e64 v1, -v5, v5, s[0:1]
	v_cndmask_b32_e64 v0, -v4, v4, s[0:1]
	;; [unrolled: 1-line block ×4, first 2 shown]
	s_waitcnt lgkmcnt(1)
	v_pk_add_f32 v[2:3], v[2:3], v[16:17]
	v_pk_add_f32 v[0:1], v[0:1], v[14:15]
	ds_write_b128 v18, v[0:3] offset:2048
	s_waitcnt lgkmcnt(0)
	s_barrier
	ds_read_b128 v[4:7], v11
	ds_read_b128 v[0:3], v11 offset:2048
	s_mov_b32 s0, 0x7f800000
	s_waitcnt lgkmcnt(1)
	v_mul_f32_e32 v8, s10, v4
	v_and_b32_e32 v4, 0x7f800000, v8
	v_cmp_ne_u32_e64 s[0:1], s0, v4
                                        ; implicit-def: $vgpr4
	s_and_saveexec_b64 s[2:3], s[0:1]
	s_xor_b64 s[0:1], exec, s[2:3]
; %bb.3:
	v_bfe_u32 v4, v8, 16, 1
	s_movk_i32 s2, 0x7fff
	v_add3_u32 v4, v8, v4, s2
                                        ; implicit-def: $vgpr8
; %bb.4:
	s_andn2_saveexec_b64 s[2:3], s[0:1]
; %bb.5:
	v_mov_b32_e32 v4, 0
	v_or_b32_e32 v9, 0x10000, v8
	v_cmp_eq_u32_sdwa s[0:1], v8, v4 src0_sel:WORD_0 src1_sel:DWORD
	v_cndmask_b32_e64 v4, v9, v8, s[0:1]
; %bb.6:
	s_or_b64 exec, exec, s[2:3]
	v_mul_f32_e32 v8, s10, v5
	s_mov_b32 s0, 0x7f800000
	v_and_b32_e32 v5, 0x7f800000, v8
	v_cmp_ne_u32_e64 s[0:1], s0, v5
                                        ; implicit-def: $vgpr5
	s_and_saveexec_b64 s[2:3], s[0:1]
	s_xor_b64 s[0:1], exec, s[2:3]
; %bb.7:
	v_bfe_u32 v5, v8, 16, 1
	s_movk_i32 s2, 0x7fff
	v_add3_u32 v5, v8, v5, s2
                                        ; implicit-def: $vgpr8
; %bb.8:
	s_andn2_saveexec_b64 s[2:3], s[0:1]
; %bb.9:
	v_mov_b32_e32 v5, 0
	v_or_b32_e32 v9, 0x10000, v8
	v_cmp_eq_u32_sdwa s[0:1], v8, v5 src0_sel:WORD_0 src1_sel:DWORD
	v_cndmask_b32_e64 v5, v9, v8, s[0:1]
; %bb.10:
	s_or_b64 exec, exec, s[2:3]
	v_mul_f32_e32 v8, s10, v6
	s_mov_b32 s0, 0x7f800000
	v_and_b32_e32 v6, 0x7f800000, v8
	v_cmp_ne_u32_e64 s[0:1], s0, v6
                                        ; implicit-def: $vgpr6
	s_and_saveexec_b64 s[2:3], s[0:1]
	s_xor_b64 s[0:1], exec, s[2:3]
; %bb.11:
	v_bfe_u32 v6, v8, 16, 1
	s_movk_i32 s2, 0x7fff
	v_add3_u32 v6, v8, v6, s2
                                        ; implicit-def: $vgpr8
; %bb.12:
	s_andn2_saveexec_b64 s[2:3], s[0:1]
; %bb.13:
	v_mov_b32_e32 v6, 0
	v_or_b32_e32 v9, 0x10000, v8
	v_cmp_eq_u32_sdwa s[0:1], v8, v6 src0_sel:WORD_0 src1_sel:DWORD
	v_cndmask_b32_e64 v6, v9, v8, s[0:1]
; %bb.14:
	s_or_b64 exec, exec, s[2:3]
	v_mul_f32_e32 v8, s10, v7
	s_mov_b32 s0, 0x7f800000
	v_and_b32_e32 v7, 0x7f800000, v8
	v_cmp_ne_u32_e64 s[0:1], s0, v7
                                        ; implicit-def: $vgpr7
	s_and_saveexec_b64 s[2:3], s[0:1]
	s_xor_b64 s[0:1], exec, s[2:3]
; %bb.15:
	v_bfe_u32 v7, v8, 16, 1
	s_movk_i32 s2, 0x7fff
	v_add3_u32 v7, v8, v7, s2
                                        ; implicit-def: $vgpr8
; %bb.16:
	s_andn2_saveexec_b64 s[2:3], s[0:1]
; %bb.17:
	v_mov_b32_e32 v7, 0
	v_or_b32_e32 v9, 0x10000, v8
	v_cmp_eq_u32_sdwa s[0:1], v8, v7 src0_sel:WORD_0 src1_sel:DWORD
	v_cndmask_b32_e64 v7, v9, v8, s[0:1]
; %bb.18:
	s_or_b64 exec, exec, s[2:3]
	s_waitcnt lgkmcnt(0)
	v_mul_f32_e32 v8, s10, v0
	s_mov_b32 s0, 0x7f800000
	v_and_b32_e32 v0, 0x7f800000, v8
	v_cmp_ne_u32_e64 s[0:1], s0, v0
                                        ; implicit-def: $vgpr0
	s_and_saveexec_b64 s[2:3], s[0:1]
	s_xor_b64 s[0:1], exec, s[2:3]
; %bb.19:
	v_bfe_u32 v0, v8, 16, 1
	s_movk_i32 s2, 0x7fff
	v_add3_u32 v0, v8, v0, s2
                                        ; implicit-def: $vgpr8
; %bb.20:
	s_andn2_saveexec_b64 s[2:3], s[0:1]
; %bb.21:
	v_mov_b32_e32 v0, 0
	v_or_b32_e32 v9, 0x10000, v8
	v_cmp_eq_u32_sdwa s[0:1], v8, v0 src0_sel:WORD_0 src1_sel:DWORD
	v_cndmask_b32_e64 v0, v9, v8, s[0:1]
; %bb.22:
	s_or_b64 exec, exec, s[2:3]
	v_mul_f32_e32 v8, s10, v1
	s_mov_b32 s0, 0x7f800000
	v_and_b32_e32 v1, 0x7f800000, v8
	v_cmp_ne_u32_e64 s[0:1], s0, v1
                                        ; implicit-def: $vgpr1
	s_and_saveexec_b64 s[2:3], s[0:1]
	s_xor_b64 s[0:1], exec, s[2:3]
; %bb.23:
	v_bfe_u32 v1, v8, 16, 1
	s_movk_i32 s2, 0x7fff
	v_add3_u32 v1, v8, v1, s2
                                        ; implicit-def: $vgpr8
; %bb.24:
	s_andn2_saveexec_b64 s[2:3], s[0:1]
; %bb.25:
	v_mov_b32_e32 v1, 0
	v_or_b32_e32 v9, 0x10000, v8
	v_cmp_eq_u32_sdwa s[0:1], v8, v1 src0_sel:WORD_0 src1_sel:DWORD
	v_cndmask_b32_e64 v1, v9, v8, s[0:1]
; %bb.26:
	s_or_b64 exec, exec, s[2:3]
	v_mul_f32_e32 v8, s10, v2
	s_mov_b32 s0, 0x7f800000
	v_and_b32_e32 v2, 0x7f800000, v8
	v_cmp_ne_u32_e64 s[0:1], s0, v2
                                        ; implicit-def: $vgpr2
	s_and_saveexec_b64 s[2:3], s[0:1]
	s_xor_b64 s[0:1], exec, s[2:3]
; %bb.27:
	v_bfe_u32 v2, v8, 16, 1
	s_movk_i32 s2, 0x7fff
	v_add3_u32 v2, v8, v2, s2
                                        ; implicit-def: $vgpr8
; %bb.28:
	s_andn2_saveexec_b64 s[2:3], s[0:1]
; %bb.29:
	v_mov_b32_e32 v2, 0
	v_or_b32_e32 v9, 0x10000, v8
	v_cmp_eq_u32_sdwa s[0:1], v8, v2 src0_sel:WORD_0 src1_sel:DWORD
	v_cndmask_b32_e64 v2, v9, v8, s[0:1]
; %bb.30:
	s_or_b64 exec, exec, s[2:3]
	v_mul_f32_e32 v8, s10, v3
	s_mov_b32 s0, 0x7f800000
	v_and_b32_e32 v3, 0x7f800000, v8
	v_cmp_ne_u32_e64 s[0:1], s0, v3
                                        ; implicit-def: $vgpr3
	s_and_saveexec_b64 s[2:3], s[0:1]
	s_xor_b64 s[0:1], exec, s[2:3]
	s_cbranch_execnz .LBB33_34
; %bb.31:
	s_andn2_saveexec_b64 s[2:3], s[0:1]
	s_cbranch_execnz .LBB33_35
.LBB33_32:
	s_or_b64 exec, exec, s[2:3]
	s_and_saveexec_b64 s[0:1], vcc
	s_cbranch_execnz .LBB33_36
.LBB33_33:
	s_endpgm
.LBB33_34:
	v_bfe_u32 v3, v8, 16, 1
	s_movk_i32 s2, 0x7fff
	v_add3_u32 v3, v8, v3, s2
                                        ; implicit-def: $vgpr8
	s_andn2_saveexec_b64 s[2:3], s[0:1]
	s_cbranch_execz .LBB33_32
.LBB33_35:
	v_mov_b32_e32 v3, 0
	v_or_b32_e32 v9, 0x10000, v8
	v_cmp_eq_u32_sdwa s[0:1], v8, v3 src0_sel:WORD_0 src1_sel:DWORD
	v_cndmask_b32_e64 v3, v9, v8, s[0:1]
	s_or_b64 exec, exec, s[2:3]
	s_and_saveexec_b64 s[0:1], vcc
	s_cbranch_execz .LBB33_33
.LBB33_36:
	s_load_dwordx2 s[0:1], s[4:5], 0x18
	s_load_dwordx2 s[2:3], s[4:5], 0x30
	s_waitcnt lgkmcnt(0)
	s_mul_i32 s4, s0, s7
	s_mul_hi_u32 s5, s0, s6
	s_mul_i32 s1, s1, s6
	s_add_i32 s4, s5, s4
	s_mul_i32 s0, s0, s6
	s_add_i32 s1, s4, s1
	s_lshl_b64 s[0:1], s[0:1], 1
	s_add_u32 s0, s2, s0
	s_mov_b32 s2, 0x7060302
	s_addc_u32 s1, s3, s1
	v_perm_b32 v3, v3, v2, s2
	v_perm_b32 v2, v1, v0, s2
	;; [unrolled: 1-line block ×4, first 2 shown]
	global_store_dwordx4 v10, v[0:3], s[0:1]
	s_endpgm
	.section	.rodata,"a",@progbits
	.p2align	6, 0x0
	.amdhsa_kernel _Z30fast_hadamard_transform_kernelI37fast_hadamard_transform_kernel_traitsILi128ELi10E14__hip_bfloat16EEv18HadamardParamsBase
		.amdhsa_group_segment_fixed_size 0
		.amdhsa_private_segment_fixed_size 0
		.amdhsa_kernarg_size 56
		.amdhsa_user_sgpr_count 6
		.amdhsa_user_sgpr_private_segment_buffer 1
		.amdhsa_user_sgpr_dispatch_ptr 0
		.amdhsa_user_sgpr_queue_ptr 0
		.amdhsa_user_sgpr_kernarg_segment_ptr 1
		.amdhsa_user_sgpr_dispatch_id 0
		.amdhsa_user_sgpr_flat_scratch_init 0
		.amdhsa_user_sgpr_kernarg_preload_length 0
		.amdhsa_user_sgpr_kernarg_preload_offset 0
		.amdhsa_user_sgpr_private_segment_size 0
		.amdhsa_uses_dynamic_stack 0
		.amdhsa_system_sgpr_private_segment_wavefront_offset 0
		.amdhsa_system_sgpr_workgroup_id_x 1
		.amdhsa_system_sgpr_workgroup_id_y 0
		.amdhsa_system_sgpr_workgroup_id_z 0
		.amdhsa_system_sgpr_workgroup_info 0
		.amdhsa_system_vgpr_workitem_id 0
		.amdhsa_next_free_vgpr 26
		.amdhsa_next_free_sgpr 13
		.amdhsa_accum_offset 28
		.amdhsa_reserve_vcc 1
		.amdhsa_reserve_flat_scratch 0
		.amdhsa_float_round_mode_32 0
		.amdhsa_float_round_mode_16_64 0
		.amdhsa_float_denorm_mode_32 3
		.amdhsa_float_denorm_mode_16_64 3
		.amdhsa_dx10_clamp 1
		.amdhsa_ieee_mode 1
		.amdhsa_fp16_overflow 0
		.amdhsa_tg_split 0
		.amdhsa_exception_fp_ieee_invalid_op 0
		.amdhsa_exception_fp_denorm_src 0
		.amdhsa_exception_fp_ieee_div_zero 0
		.amdhsa_exception_fp_ieee_overflow 0
		.amdhsa_exception_fp_ieee_underflow 0
		.amdhsa_exception_fp_ieee_inexact 0
		.amdhsa_exception_int_div_zero 0
	.end_amdhsa_kernel
	.section	.text._Z30fast_hadamard_transform_kernelI37fast_hadamard_transform_kernel_traitsILi128ELi10E14__hip_bfloat16EEv18HadamardParamsBase,"axG",@progbits,_Z30fast_hadamard_transform_kernelI37fast_hadamard_transform_kernel_traitsILi128ELi10E14__hip_bfloat16EEv18HadamardParamsBase,comdat
.Lfunc_end33:
	.size	_Z30fast_hadamard_transform_kernelI37fast_hadamard_transform_kernel_traitsILi128ELi10E14__hip_bfloat16EEv18HadamardParamsBase, .Lfunc_end33-_Z30fast_hadamard_transform_kernelI37fast_hadamard_transform_kernel_traitsILi128ELi10E14__hip_bfloat16EEv18HadamardParamsBase
                                        ; -- End function
	.section	.AMDGPU.csdata,"",@progbits
; Kernel info:
; codeLenInByte = 2848
; NumSgprs: 17
; NumVgprs: 26
; NumAgprs: 0
; TotalNumVgprs: 26
; ScratchSize: 0
; MemoryBound: 0
; FloatMode: 240
; IeeeMode: 1
; LDSByteSize: 0 bytes/workgroup (compile time only)
; SGPRBlocks: 2
; VGPRBlocks: 3
; NumSGPRsForWavesPerEU: 17
; NumVGPRsForWavesPerEU: 26
; AccumOffset: 28
; Occupancy: 8
; WaveLimiterHint : 0
; COMPUTE_PGM_RSRC2:SCRATCH_EN: 0
; COMPUTE_PGM_RSRC2:USER_SGPR: 6
; COMPUTE_PGM_RSRC2:TRAP_HANDLER: 0
; COMPUTE_PGM_RSRC2:TGID_X_EN: 1
; COMPUTE_PGM_RSRC2:TGID_Y_EN: 0
; COMPUTE_PGM_RSRC2:TGID_Z_EN: 0
; COMPUTE_PGM_RSRC2:TIDIG_COMP_CNT: 0
; COMPUTE_PGM_RSRC3_GFX90A:ACCUM_OFFSET: 6
; COMPUTE_PGM_RSRC3_GFX90A:TG_SPLIT: 0
	.section	.text._Z30fast_hadamard_transform_kernelI37fast_hadamard_transform_kernel_traitsILi256ELi11E14__hip_bfloat16EEv18HadamardParamsBase,"axG",@progbits,_Z30fast_hadamard_transform_kernelI37fast_hadamard_transform_kernel_traitsILi256ELi11E14__hip_bfloat16EEv18HadamardParamsBase,comdat
	.protected	_Z30fast_hadamard_transform_kernelI37fast_hadamard_transform_kernel_traitsILi256ELi11E14__hip_bfloat16EEv18HadamardParamsBase ; -- Begin function _Z30fast_hadamard_transform_kernelI37fast_hadamard_transform_kernel_traitsILi256ELi11E14__hip_bfloat16EEv18HadamardParamsBase
	.globl	_Z30fast_hadamard_transform_kernelI37fast_hadamard_transform_kernel_traitsILi256ELi11E14__hip_bfloat16EEv18HadamardParamsBase
	.p2align	8
	.type	_Z30fast_hadamard_transform_kernelI37fast_hadamard_transform_kernel_traitsILi256ELi11E14__hip_bfloat16EEv18HadamardParamsBase,@function
_Z30fast_hadamard_transform_kernelI37fast_hadamard_transform_kernel_traitsILi256ELi11E14__hip_bfloat16EEv18HadamardParamsBase: ; @_Z30fast_hadamard_transform_kernelI37fast_hadamard_transform_kernel_traitsILi256ELi11E14__hip_bfloat16EEv18HadamardParamsBase
; %bb.0:
	s_load_dword s0, s[4:5], 0x4
	s_load_dword s12, s[4:5], 0x20
	v_lshlrev_b32_e32 v1, 3, v0
	v_mov_b32_e32 v2, 0
	s_ashr_i32 s7, s6, 31
	s_waitcnt lgkmcnt(0)
	v_cmp_gt_u32_e32 vcc, s0, v1
	v_lshlrev_b32_e32 v10, 4, v0
	v_mov_b32_e32 v4, 0
	v_mov_b32_e32 v6, 0
	;; [unrolled: 1-line block ×7, first 2 shown]
	s_and_saveexec_b64 s[0:1], vcc
	s_cbranch_execz .LBB34_2
; %bb.1:
	s_load_dwordx2 s[2:3], s[4:5], 0x10
	s_load_dwordx2 s[8:9], s[4:5], 0x28
	s_waitcnt lgkmcnt(0)
	s_mul_i32 s10, s2, s7
	s_mul_hi_u32 s11, s2, s6
	s_mul_i32 s3, s3, s6
	s_add_i32 s10, s11, s10
	s_mul_i32 s2, s2, s6
	s_add_i32 s3, s10, s3
	s_lshl_b64 s[2:3], s[2:3], 1
	s_add_u32 s2, s8, s2
	s_addc_u32 s3, s9, s3
	global_load_dwordx4 v[12:15], v10, s[2:3]
	s_waitcnt vmcnt(0)
	v_and_b32_e32 v9, 0xffff0000, v12
	v_lshlrev_b32_e32 v7, 16, v12
	v_and_b32_e32 v5, 0xffff0000, v13
	v_lshlrev_b32_e32 v3, 16, v13
	;; [unrolled: 2-line block ×4, first 2 shown]
.LBB34_2:
	s_or_b64 exec, exec, s[0:1]
	v_pk_add_f32 v[12:13], v[8:9], v[6:7]
	v_pk_add_f32 v[14:15], v[4:5], v[2:3]
	v_pk_add_f32 v[6:7], v[6:7], v[8:9] neg_lo:[0,1] neg_hi:[0,1]
	v_pk_add_f32 v[2:3], v[2:3], v[4:5] neg_lo:[0,1] neg_hi:[0,1]
	v_pk_add_f32 v[16:17], v[14:15], v[12:13]
	v_pk_add_f32 v[4:5], v[2:3], v[6:7]
	v_pk_add_f32 v[12:13], v[12:13], v[14:15] neg_lo:[0,1] neg_hi:[0,1]
	v_pk_add_f32 v[2:3], v[6:7], v[2:3] neg_lo:[0,1] neg_hi:[0,1]
	v_mov_b32_e32 v6, v17
	v_mov_b32_e32 v14, v5
	v_pk_add_f32 v[8:9], v[16:17], v[6:7]
	v_pk_add_f32 v[6:7], v[6:7], v[16:17] neg_lo:[0,1] neg_hi:[0,1]
	v_pk_add_f32 v[16:17], v[4:5], v[14:15]
	v_pk_add_f32 v[4:5], v[14:15], v[4:5] neg_lo:[0,1] neg_hi:[0,1]
	v_mov_b32_e32 v14, v13
	v_pk_add_f32 v[18:19], v[12:13], v[14:15]
	v_pk_add_f32 v[12:13], v[14:15], v[12:13] neg_lo:[0,1] neg_hi:[0,1]
	v_mov_b32_e32 v14, v3
	v_mbcnt_lo_u32_b32 v1, -1, 0
	v_pk_add_f32 v[20:21], v[2:3], v[14:15]
	v_pk_add_f32 v[2:3], v[14:15], v[2:3] neg_lo:[0,1] neg_hi:[0,1]
	v_mbcnt_hi_u32_b32 v1, -1, v1
	v_and_b32_e32 v3, 64, v1
	v_add_u32_e32 v11, 64, v3
	v_xor_b32_e32 v3, 1, v1
	v_cmp_lt_i32_e64 s[0:1], v3, v11
	v_cndmask_b32_e64 v3, v1, v3, s[0:1]
	v_lshlrev_b32_e32 v21, 2, v3
	ds_bpermute_b32 v3, v21, v8
	v_and_b32_e32 v5, 1, v0
	v_cmp_eq_u32_e64 s[0:1], 0, v5
	v_cndmask_b32_e64 v5, -v8, v8, s[0:1]
	v_cndmask_b32_e64 v9, -v18, v18, s[0:1]
	s_waitcnt lgkmcnt(0)
	v_add_f32_e32 v3, v5, v3
	ds_bpermute_b32 v5, v21, v18
	ds_bpermute_b32 v7, v21, v16
	v_cndmask_b32_e64 v8, -v16, v16, s[0:1]
	v_cndmask_b32_e64 v13, -v20, v20, s[0:1]
	ds_bpermute_b32 v14, v21, v2
	s_waitcnt lgkmcnt(2)
	v_add_f32_e32 v5, v9, v5
	ds_bpermute_b32 v9, v21, v6
	v_cndmask_b32_e64 v6, -v6, v6, s[0:1]
	s_waitcnt lgkmcnt(2)
	v_add_f32_e32 v7, v8, v7
	ds_bpermute_b32 v8, v21, v20
	v_cndmask_b32_e64 v2, -v2, v2, s[0:1]
	;; [unrolled: 4-line block ×4, first 2 shown]
	s_waitcnt lgkmcnt(1)
	v_add_f32_e32 v9, v12, v9
	v_xor_b32_e32 v12, 2, v1
	v_cmp_lt_i32_e64 s[2:3], v12, v11
	v_cndmask_b32_e64 v12, v1, v12, s[2:3]
	v_lshlrev_b32_e32 v20, 2, v12
	ds_bpermute_b32 v12, v20, v3
	s_waitcnt lgkmcnt(1)
	v_add_f32_e32 v4, v4, v13
	v_and_b32_e32 v13, 2, v0
	v_cmp_eq_u32_e64 s[2:3], 0, v13
	v_cndmask_b32_e64 v3, -v3, v3, s[2:3]
	s_waitcnt lgkmcnt(0)
	v_add_f32_e32 v3, v3, v12
	ds_bpermute_b32 v12, v20, v5
	v_cndmask_b32_e64 v5, -v5, v5, s[2:3]
	ds_bpermute_b32 v13, v20, v8
	v_add_f32_e32 v2, v2, v14
	ds_bpermute_b32 v14, v20, v7
	s_waitcnt lgkmcnt(2)
	v_add_f32_e32 v5, v5, v12
	ds_bpermute_b32 v12, v20, v6
	v_cndmask_b32_e64 v6, -v6, v6, s[2:3]
	v_cndmask_b32_e64 v8, -v8, v8, s[2:3]
	s_waitcnt lgkmcnt(2)
	v_add_f32_e32 v8, v8, v13
	ds_bpermute_b32 v13, v20, v4
	s_waitcnt lgkmcnt(1)
	v_add_f32_e32 v6, v6, v12
	ds_bpermute_b32 v12, v20, v9
	v_cndmask_b32_e64 v9, -v9, v9, s[2:3]
	v_cndmask_b32_e64 v7, -v7, v7, s[2:3]
	v_add_f32_e32 v7, v7, v14
	ds_bpermute_b32 v14, v20, v2
	s_waitcnt lgkmcnt(1)
	v_add_f32_e32 v9, v9, v12
	v_xor_b32_e32 v12, 4, v1
	v_cmp_lt_i32_e64 s[8:9], v12, v11
	v_cndmask_b32_e64 v12, v1, v12, s[8:9]
	v_cndmask_b32_e64 v4, -v4, v4, s[2:3]
	v_lshlrev_b32_e32 v12, 2, v12
	v_add_f32_e32 v4, v4, v13
	ds_bpermute_b32 v13, v12, v3
	v_cndmask_b32_e64 v2, -v2, v2, s[2:3]
	s_waitcnt lgkmcnt(1)
	v_add_f32_e32 v2, v2, v14
	v_and_b32_e32 v14, 4, v0
	v_cmp_eq_u32_e64 s[8:9], 0, v14
	v_cndmask_b32_e64 v3, -v3, v3, s[8:9]
	s_waitcnt lgkmcnt(0)
	v_add_f32_e32 v3, v3, v13
	ds_bpermute_b32 v13, v12, v5
	v_cndmask_b32_e64 v5, -v5, v5, s[8:9]
	ds_bpermute_b32 v15, v12, v7
	ds_bpermute_b32 v14, v12, v8
	v_cndmask_b32_e64 v7, -v7, v7, s[8:9]
	s_waitcnt lgkmcnt(2)
	v_add_f32_e32 v13, v5, v13
	ds_bpermute_b32 v5, v12, v6
	v_cndmask_b32_e64 v6, -v6, v6, s[8:9]
	s_waitcnt lgkmcnt(2)
	v_add_f32_e32 v7, v7, v15
	v_cndmask_b32_e64 v8, -v8, v8, s[8:9]
	s_waitcnt lgkmcnt(1)
	v_add_f32_e32 v14, v8, v14
	s_waitcnt lgkmcnt(0)
	v_add_f32_e32 v15, v6, v5
	ds_bpermute_b32 v6, v12, v2
	ds_bpermute_b32 v8, v12, v4
	;; [unrolled: 1-line block ×3, first 2 shown]
	v_cndmask_b32_e64 v2, -v2, v2, s[8:9]
	v_cndmask_b32_e64 v4, -v4, v4, s[8:9]
	s_waitcnt lgkmcnt(2)
	v_add_f32_e32 v19, v2, v6
	v_xor_b32_e32 v2, 8, v1
	s_waitcnt lgkmcnt(1)
	v_add_f32_e32 v16, v4, v8
	v_cndmask_b32_e64 v4, -v9, v9, s[8:9]
	v_cmp_lt_i32_e64 s[8:9], v2, v11
	s_waitcnt lgkmcnt(0)
	v_add_f32_e32 v17, v4, v5
	v_and_b32_e32 v4, 8, v0
	v_cndmask_b32_e64 v2, v1, v2, s[8:9]
	v_lshlrev_b32_e32 v22, 2, v2
	v_cmp_eq_u32_e64 s[8:9], 0, v4
	ds_bpermute_b32 v2, v22, v3
	v_cndmask_b32_e64 v4, -v3, v3, s[8:9]
	ds_bpermute_b32 v3, v22, v7
	v_xor_b32_e32 v23, 16, v1
	v_cndmask_b32_e64 v5, -v7, v7, s[8:9]
	ds_bpermute_b32 v6, v22, v13
	v_cndmask_b32_e64 v8, -v13, v13, s[8:9]
	ds_bpermute_b32 v7, v22, v14
	;; [unrolled: 2-line block ×6, first 2 shown]
	v_cndmask_b32_e64 v19, -v19, v19, s[8:9]
	v_cmp_lt_i32_e64 s[8:9], v23, v11
	v_cndmask_b32_e64 v23, v1, v23, s[8:9]
	v_lshlrev_b32_e32 v23, 2, v23
	s_waitcnt lgkmcnt(6)
	v_pk_add_f32 v[2:3], v[4:5], v[2:3]
	ds_bpermute_b32 v4, v23, v2
	ds_bpermute_b32 v5, v23, v3
	v_xor_b32_e32 v25, 32, v1
	v_and_b32_e32 v22, 16, v0
	v_cmp_lt_i32_e64 s[8:9], v25, v11
	v_cndmask_b32_e64 v1, v1, v25, s[8:9]
	v_cmp_eq_u32_e64 s[8:9], 0, v22
	v_cndmask_b32_e64 v3, -v3, v3, s[8:9]
	v_cndmask_b32_e64 v2, -v2, v2, s[8:9]
	v_lshlrev_b32_e32 v1, 2, v1
	s_waitcnt lgkmcnt(0)
	v_pk_add_f32 v[2:3], v[2:3], v[4:5]
	ds_bpermute_b32 v4, v1, v2
	ds_bpermute_b32 v5, v1, v3
	v_pk_add_f32 v[6:7], v[8:9], v[6:7]
	ds_bpermute_b32 v8, v23, v6
	ds_bpermute_b32 v9, v23, v7
	v_and_b32_e32 v24, 32, v0
	v_cmp_eq_u32_e64 s[10:11], 0, v24
	v_cndmask_b32_e64 v3, -v3, v3, s[10:11]
	v_cndmask_b32_e64 v2, -v2, v2, s[10:11]
	s_waitcnt lgkmcnt(2)
	v_pk_add_f32 v[2:3], v[2:3], v[4:5]
	v_cndmask_b32_e64 v5, -v7, v7, s[8:9]
	v_cndmask_b32_e64 v4, -v6, v6, s[8:9]
	s_waitcnt lgkmcnt(0)
	v_pk_add_f32 v[4:5], v[4:5], v[8:9]
	ds_bpermute_b32 v6, v1, v4
	ds_bpermute_b32 v7, v1, v5
	v_lshrrev_b32_e32 v11, 6, v0
	v_xor_b32_e32 v11, v11, v0
	v_cndmask_b32_e64 v5, -v5, v5, s[10:11]
	v_cndmask_b32_e64 v4, -v4, v4, s[10:11]
	v_pk_add_f32 v[8:9], v[14:15], v[12:13]
	v_lshl_add_u32 v11, v11, 4, 0
	ds_bpermute_b32 v12, v23, v8
	ds_bpermute_b32 v13, v23, v9
	s_waitcnt lgkmcnt(2)
	v_pk_add_f32 v[4:5], v[4:5], v[6:7]
	v_pk_add_f32 v[6:7], v[18:19], v[16:17]
	s_waitcnt lgkmcnt(0)
	s_barrier
	ds_write_b128 v11, v[2:5]
	v_cndmask_b32_e64 v3, -v9, v9, s[8:9]
	v_cndmask_b32_e64 v2, -v8, v8, s[8:9]
	ds_bpermute_b32 v8, v23, v6
	ds_bpermute_b32 v9, v23, v7
	v_pk_add_f32 v[2:3], v[2:3], v[12:13]
	v_cndmask_b32_e64 v7, -v7, v7, s[8:9]
	v_cndmask_b32_e64 v6, -v6, v6, s[8:9]
	ds_bpermute_b32 v4, v1, v2
	ds_bpermute_b32 v5, v1, v3
	s_waitcnt lgkmcnt(2)
	v_pk_add_f32 v[6:7], v[6:7], v[8:9]
	ds_bpermute_b32 v8, v1, v6
	ds_bpermute_b32 v9, v1, v7
	v_and_b32_e32 v25, 3, v0
	v_lshrrev_b32_e32 v0, 2, v0
	v_cndmask_b32_e64 v3, -v3, v3, s[10:11]
	v_cndmask_b32_e64 v2, -v2, v2, s[10:11]
	v_lshl_or_b32 v0, v25, 6, v0
	s_waitcnt lgkmcnt(2)
	v_pk_add_f32 v[2:3], v[2:3], v[4:5]
	v_cndmask_b32_e64 v5, -v7, v7, s[10:11]
	v_cndmask_b32_e64 v4, -v6, v6, s[10:11]
	v_xor_b32_e32 v0, v0, v25
	s_waitcnt lgkmcnt(0)
	v_pk_add_f32 v[4:5], v[4:5], v[8:9]
	v_lshl_add_u32 v18, v0, 4, 0
	ds_write_b128 v11, v[2:5] offset:4096
	s_waitcnt lgkmcnt(0)
	s_barrier
	ds_read_b128 v[0:3], v18
	ds_read_b128 v[4:7], v18 offset:4096
	s_waitcnt lgkmcnt(0)
	s_barrier
	ds_bpermute_b32 v8, v21, v0
	ds_bpermute_b32 v9, v21, v1
	;; [unrolled: 1-line block ×4, first 2 shown]
	v_cndmask_b32_e64 v1, -v1, v1, s[0:1]
	v_cndmask_b32_e64 v0, -v0, v0, s[0:1]
	;; [unrolled: 1-line block ×4, first 2 shown]
	s_waitcnt lgkmcnt(0)
	v_pk_add_f32 v[2:3], v[2:3], v[12:13]
	v_pk_add_f32 v[0:1], v[0:1], v[8:9]
	ds_bpermute_b32 v8, v20, v0
	ds_bpermute_b32 v9, v20, v1
	;; [unrolled: 1-line block ×8, first 2 shown]
	v_cndmask_b32_e64 v1, -v1, v1, s[2:3]
	v_cndmask_b32_e64 v0, -v0, v0, s[2:3]
	;; [unrolled: 1-line block ×4, first 2 shown]
	s_waitcnt lgkmcnt(4)
	v_pk_add_f32 v[2:3], v[2:3], v[12:13]
	v_pk_add_f32 v[0:1], v[0:1], v[8:9]
	ds_write_b128 v18, v[0:3]
	v_cndmask_b32_e64 v1, -v5, v5, s[0:1]
	v_cndmask_b32_e64 v0, -v4, v4, s[0:1]
	;; [unrolled: 1-line block ×4, first 2 shown]
	s_waitcnt lgkmcnt(1)
	v_pk_add_f32 v[2:3], v[2:3], v[16:17]
	v_pk_add_f32 v[0:1], v[0:1], v[14:15]
	ds_bpermute_b32 v4, v20, v0
	ds_bpermute_b32 v5, v20, v1
	;; [unrolled: 1-line block ×4, first 2 shown]
	v_cndmask_b32_e64 v1, -v1, v1, s[2:3]
	v_cndmask_b32_e64 v0, -v0, v0, s[2:3]
	;; [unrolled: 1-line block ×4, first 2 shown]
	s_waitcnt lgkmcnt(0)
	v_pk_add_f32 v[2:3], v[2:3], v[6:7]
	v_pk_add_f32 v[0:1], v[0:1], v[4:5]
	ds_write_b128 v18, v[0:3] offset:4096
	s_waitcnt lgkmcnt(0)
	s_barrier
	ds_read_b128 v[4:7], v11
	ds_read_b128 v[0:3], v11 offset:4096
	s_mov_b32 s0, 0x7f800000
	s_waitcnt lgkmcnt(1)
	v_mul_f32_e32 v8, s12, v4
	v_and_b32_e32 v4, 0x7f800000, v8
	v_cmp_ne_u32_e64 s[0:1], s0, v4
                                        ; implicit-def: $vgpr4
	s_and_saveexec_b64 s[2:3], s[0:1]
	s_xor_b64 s[0:1], exec, s[2:3]
; %bb.3:
	v_bfe_u32 v4, v8, 16, 1
	s_movk_i32 s2, 0x7fff
	v_add3_u32 v4, v8, v4, s2
                                        ; implicit-def: $vgpr8
; %bb.4:
	s_andn2_saveexec_b64 s[2:3], s[0:1]
; %bb.5:
	v_mov_b32_e32 v4, 0
	v_or_b32_e32 v9, 0x10000, v8
	v_cmp_eq_u32_sdwa s[0:1], v8, v4 src0_sel:WORD_0 src1_sel:DWORD
	v_cndmask_b32_e64 v4, v9, v8, s[0:1]
; %bb.6:
	s_or_b64 exec, exec, s[2:3]
	v_mul_f32_e32 v8, s12, v5
	s_mov_b32 s0, 0x7f800000
	v_and_b32_e32 v5, 0x7f800000, v8
	v_cmp_ne_u32_e64 s[0:1], s0, v5
                                        ; implicit-def: $vgpr5
	s_and_saveexec_b64 s[2:3], s[0:1]
	s_xor_b64 s[0:1], exec, s[2:3]
; %bb.7:
	v_bfe_u32 v5, v8, 16, 1
	s_movk_i32 s2, 0x7fff
	v_add3_u32 v5, v8, v5, s2
                                        ; implicit-def: $vgpr8
; %bb.8:
	s_andn2_saveexec_b64 s[2:3], s[0:1]
; %bb.9:
	v_mov_b32_e32 v5, 0
	v_or_b32_e32 v9, 0x10000, v8
	v_cmp_eq_u32_sdwa s[0:1], v8, v5 src0_sel:WORD_0 src1_sel:DWORD
	v_cndmask_b32_e64 v5, v9, v8, s[0:1]
; %bb.10:
	s_or_b64 exec, exec, s[2:3]
	v_mul_f32_e32 v8, s12, v6
	s_mov_b32 s0, 0x7f800000
	v_and_b32_e32 v6, 0x7f800000, v8
	v_cmp_ne_u32_e64 s[0:1], s0, v6
                                        ; implicit-def: $vgpr6
	s_and_saveexec_b64 s[2:3], s[0:1]
	s_xor_b64 s[0:1], exec, s[2:3]
; %bb.11:
	v_bfe_u32 v6, v8, 16, 1
	s_movk_i32 s2, 0x7fff
	v_add3_u32 v6, v8, v6, s2
                                        ; implicit-def: $vgpr8
; %bb.12:
	s_andn2_saveexec_b64 s[2:3], s[0:1]
; %bb.13:
	v_mov_b32_e32 v6, 0
	v_or_b32_e32 v9, 0x10000, v8
	v_cmp_eq_u32_sdwa s[0:1], v8, v6 src0_sel:WORD_0 src1_sel:DWORD
	v_cndmask_b32_e64 v6, v9, v8, s[0:1]
; %bb.14:
	s_or_b64 exec, exec, s[2:3]
	v_mul_f32_e32 v8, s12, v7
	s_mov_b32 s0, 0x7f800000
	v_and_b32_e32 v7, 0x7f800000, v8
	v_cmp_ne_u32_e64 s[0:1], s0, v7
                                        ; implicit-def: $vgpr7
	s_and_saveexec_b64 s[2:3], s[0:1]
	s_xor_b64 s[0:1], exec, s[2:3]
; %bb.15:
	v_bfe_u32 v7, v8, 16, 1
	s_movk_i32 s2, 0x7fff
	v_add3_u32 v7, v8, v7, s2
                                        ; implicit-def: $vgpr8
; %bb.16:
	s_andn2_saveexec_b64 s[2:3], s[0:1]
; %bb.17:
	v_mov_b32_e32 v7, 0
	v_or_b32_e32 v9, 0x10000, v8
	v_cmp_eq_u32_sdwa s[0:1], v8, v7 src0_sel:WORD_0 src1_sel:DWORD
	v_cndmask_b32_e64 v7, v9, v8, s[0:1]
; %bb.18:
	s_or_b64 exec, exec, s[2:3]
	s_waitcnt lgkmcnt(0)
	v_mul_f32_e32 v8, s12, v0
	s_mov_b32 s0, 0x7f800000
	v_and_b32_e32 v0, 0x7f800000, v8
	v_cmp_ne_u32_e64 s[0:1], s0, v0
                                        ; implicit-def: $vgpr0
	s_and_saveexec_b64 s[2:3], s[0:1]
	s_xor_b64 s[0:1], exec, s[2:3]
; %bb.19:
	v_bfe_u32 v0, v8, 16, 1
	s_movk_i32 s2, 0x7fff
	v_add3_u32 v0, v8, v0, s2
                                        ; implicit-def: $vgpr8
; %bb.20:
	s_andn2_saveexec_b64 s[2:3], s[0:1]
; %bb.21:
	v_mov_b32_e32 v0, 0
	v_or_b32_e32 v9, 0x10000, v8
	v_cmp_eq_u32_sdwa s[0:1], v8, v0 src0_sel:WORD_0 src1_sel:DWORD
	v_cndmask_b32_e64 v0, v9, v8, s[0:1]
; %bb.22:
	s_or_b64 exec, exec, s[2:3]
	v_mul_f32_e32 v8, s12, v1
	s_mov_b32 s0, 0x7f800000
	v_and_b32_e32 v1, 0x7f800000, v8
	v_cmp_ne_u32_e64 s[0:1], s0, v1
                                        ; implicit-def: $vgpr1
	s_and_saveexec_b64 s[2:3], s[0:1]
	s_xor_b64 s[0:1], exec, s[2:3]
; %bb.23:
	v_bfe_u32 v1, v8, 16, 1
	s_movk_i32 s2, 0x7fff
	v_add3_u32 v1, v8, v1, s2
                                        ; implicit-def: $vgpr8
; %bb.24:
	s_andn2_saveexec_b64 s[2:3], s[0:1]
; %bb.25:
	v_mov_b32_e32 v1, 0
	v_or_b32_e32 v9, 0x10000, v8
	v_cmp_eq_u32_sdwa s[0:1], v8, v1 src0_sel:WORD_0 src1_sel:DWORD
	v_cndmask_b32_e64 v1, v9, v8, s[0:1]
; %bb.26:
	s_or_b64 exec, exec, s[2:3]
	v_mul_f32_e32 v8, s12, v2
	s_mov_b32 s0, 0x7f800000
	v_and_b32_e32 v2, 0x7f800000, v8
	v_cmp_ne_u32_e64 s[0:1], s0, v2
                                        ; implicit-def: $vgpr2
	s_and_saveexec_b64 s[2:3], s[0:1]
	s_xor_b64 s[0:1], exec, s[2:3]
; %bb.27:
	v_bfe_u32 v2, v8, 16, 1
	s_movk_i32 s2, 0x7fff
	v_add3_u32 v2, v8, v2, s2
                                        ; implicit-def: $vgpr8
; %bb.28:
	s_andn2_saveexec_b64 s[2:3], s[0:1]
; %bb.29:
	v_mov_b32_e32 v2, 0
	v_or_b32_e32 v9, 0x10000, v8
	v_cmp_eq_u32_sdwa s[0:1], v8, v2 src0_sel:WORD_0 src1_sel:DWORD
	v_cndmask_b32_e64 v2, v9, v8, s[0:1]
; %bb.30:
	s_or_b64 exec, exec, s[2:3]
	v_mul_f32_e32 v8, s12, v3
	s_mov_b32 s0, 0x7f800000
	v_and_b32_e32 v3, 0x7f800000, v8
	v_cmp_ne_u32_e64 s[0:1], s0, v3
                                        ; implicit-def: $vgpr3
	s_and_saveexec_b64 s[2:3], s[0:1]
	s_xor_b64 s[0:1], exec, s[2:3]
	s_cbranch_execnz .LBB34_34
; %bb.31:
	s_andn2_saveexec_b64 s[2:3], s[0:1]
	s_cbranch_execnz .LBB34_35
.LBB34_32:
	s_or_b64 exec, exec, s[2:3]
	s_and_saveexec_b64 s[0:1], vcc
	s_cbranch_execnz .LBB34_36
.LBB34_33:
	s_endpgm
.LBB34_34:
	v_bfe_u32 v3, v8, 16, 1
	s_movk_i32 s2, 0x7fff
	v_add3_u32 v3, v8, v3, s2
                                        ; implicit-def: $vgpr8
	s_andn2_saveexec_b64 s[2:3], s[0:1]
	s_cbranch_execz .LBB34_32
.LBB34_35:
	v_mov_b32_e32 v3, 0
	v_or_b32_e32 v9, 0x10000, v8
	v_cmp_eq_u32_sdwa s[0:1], v8, v3 src0_sel:WORD_0 src1_sel:DWORD
	v_cndmask_b32_e64 v3, v9, v8, s[0:1]
	s_or_b64 exec, exec, s[2:3]
	s_and_saveexec_b64 s[0:1], vcc
	s_cbranch_execz .LBB34_33
.LBB34_36:
	s_load_dwordx2 s[0:1], s[4:5], 0x18
	s_load_dwordx2 s[2:3], s[4:5], 0x30
	s_waitcnt lgkmcnt(0)
	s_mul_i32 s4, s0, s7
	s_mul_hi_u32 s5, s0, s6
	s_mul_i32 s1, s1, s6
	s_add_i32 s4, s5, s4
	s_mul_i32 s0, s0, s6
	s_add_i32 s1, s4, s1
	s_lshl_b64 s[0:1], s[0:1], 1
	s_add_u32 s0, s2, s0
	s_mov_b32 s2, 0x7060302
	s_addc_u32 s1, s3, s1
	v_perm_b32 v3, v3, v2, s2
	v_perm_b32 v2, v1, v0, s2
	;; [unrolled: 1-line block ×4, first 2 shown]
	global_store_dwordx4 v10, v[0:3], s[0:1]
	s_endpgm
	.section	.rodata,"a",@progbits
	.p2align	6, 0x0
	.amdhsa_kernel _Z30fast_hadamard_transform_kernelI37fast_hadamard_transform_kernel_traitsILi256ELi11E14__hip_bfloat16EEv18HadamardParamsBase
		.amdhsa_group_segment_fixed_size 0
		.amdhsa_private_segment_fixed_size 0
		.amdhsa_kernarg_size 56
		.amdhsa_user_sgpr_count 6
		.amdhsa_user_sgpr_private_segment_buffer 1
		.amdhsa_user_sgpr_dispatch_ptr 0
		.amdhsa_user_sgpr_queue_ptr 0
		.amdhsa_user_sgpr_kernarg_segment_ptr 1
		.amdhsa_user_sgpr_dispatch_id 0
		.amdhsa_user_sgpr_flat_scratch_init 0
		.amdhsa_user_sgpr_kernarg_preload_length 0
		.amdhsa_user_sgpr_kernarg_preload_offset 0
		.amdhsa_user_sgpr_private_segment_size 0
		.amdhsa_uses_dynamic_stack 0
		.amdhsa_system_sgpr_private_segment_wavefront_offset 0
		.amdhsa_system_sgpr_workgroup_id_x 1
		.amdhsa_system_sgpr_workgroup_id_y 0
		.amdhsa_system_sgpr_workgroup_id_z 0
		.amdhsa_system_sgpr_workgroup_info 0
		.amdhsa_system_vgpr_workitem_id 0
		.amdhsa_next_free_vgpr 26
		.amdhsa_next_free_sgpr 13
		.amdhsa_accum_offset 28
		.amdhsa_reserve_vcc 1
		.amdhsa_reserve_flat_scratch 0
		.amdhsa_float_round_mode_32 0
		.amdhsa_float_round_mode_16_64 0
		.amdhsa_float_denorm_mode_32 3
		.amdhsa_float_denorm_mode_16_64 3
		.amdhsa_dx10_clamp 1
		.amdhsa_ieee_mode 1
		.amdhsa_fp16_overflow 0
		.amdhsa_tg_split 0
		.amdhsa_exception_fp_ieee_invalid_op 0
		.amdhsa_exception_fp_denorm_src 0
		.amdhsa_exception_fp_ieee_div_zero 0
		.amdhsa_exception_fp_ieee_overflow 0
		.amdhsa_exception_fp_ieee_underflow 0
		.amdhsa_exception_fp_ieee_inexact 0
		.amdhsa_exception_int_div_zero 0
	.end_amdhsa_kernel
	.section	.text._Z30fast_hadamard_transform_kernelI37fast_hadamard_transform_kernel_traitsILi256ELi11E14__hip_bfloat16EEv18HadamardParamsBase,"axG",@progbits,_Z30fast_hadamard_transform_kernelI37fast_hadamard_transform_kernel_traitsILi256ELi11E14__hip_bfloat16EEv18HadamardParamsBase,comdat
.Lfunc_end34:
	.size	_Z30fast_hadamard_transform_kernelI37fast_hadamard_transform_kernel_traitsILi256ELi11E14__hip_bfloat16EEv18HadamardParamsBase, .Lfunc_end34-_Z30fast_hadamard_transform_kernelI37fast_hadamard_transform_kernel_traitsILi256ELi11E14__hip_bfloat16EEv18HadamardParamsBase
                                        ; -- End function
	.section	.AMDGPU.csdata,"",@progbits
; Kernel info:
; codeLenInByte = 3024
; NumSgprs: 17
; NumVgprs: 26
; NumAgprs: 0
; TotalNumVgprs: 26
; ScratchSize: 0
; MemoryBound: 0
; FloatMode: 240
; IeeeMode: 1
; LDSByteSize: 0 bytes/workgroup (compile time only)
; SGPRBlocks: 2
; VGPRBlocks: 3
; NumSGPRsForWavesPerEU: 17
; NumVGPRsForWavesPerEU: 26
; AccumOffset: 28
; Occupancy: 8
; WaveLimiterHint : 0
; COMPUTE_PGM_RSRC2:SCRATCH_EN: 0
; COMPUTE_PGM_RSRC2:USER_SGPR: 6
; COMPUTE_PGM_RSRC2:TRAP_HANDLER: 0
; COMPUTE_PGM_RSRC2:TGID_X_EN: 1
; COMPUTE_PGM_RSRC2:TGID_Y_EN: 0
; COMPUTE_PGM_RSRC2:TGID_Z_EN: 0
; COMPUTE_PGM_RSRC2:TIDIG_COMP_CNT: 0
; COMPUTE_PGM_RSRC3_GFX90A:ACCUM_OFFSET: 6
; COMPUTE_PGM_RSRC3_GFX90A:TG_SPLIT: 0
	.section	.text._Z30fast_hadamard_transform_kernelI37fast_hadamard_transform_kernel_traitsILi256ELi12E14__hip_bfloat16EEv18HadamardParamsBase,"axG",@progbits,_Z30fast_hadamard_transform_kernelI37fast_hadamard_transform_kernel_traitsILi256ELi12E14__hip_bfloat16EEv18HadamardParamsBase,comdat
	.protected	_Z30fast_hadamard_transform_kernelI37fast_hadamard_transform_kernel_traitsILi256ELi12E14__hip_bfloat16EEv18HadamardParamsBase ; -- Begin function _Z30fast_hadamard_transform_kernelI37fast_hadamard_transform_kernel_traitsILi256ELi12E14__hip_bfloat16EEv18HadamardParamsBase
	.globl	_Z30fast_hadamard_transform_kernelI37fast_hadamard_transform_kernel_traitsILi256ELi12E14__hip_bfloat16EEv18HadamardParamsBase
	.p2align	8
	.type	_Z30fast_hadamard_transform_kernelI37fast_hadamard_transform_kernel_traitsILi256ELi12E14__hip_bfloat16EEv18HadamardParamsBase,@function
_Z30fast_hadamard_transform_kernelI37fast_hadamard_transform_kernel_traitsILi256ELi12E14__hip_bfloat16EEv18HadamardParamsBase: ; @_Z30fast_hadamard_transform_kernelI37fast_hadamard_transform_kernel_traitsILi256ELi12E14__hip_bfloat16EEv18HadamardParamsBase
; %bb.0:
	s_load_dwordx4 s[12:15], s[4:5], 0x10
	s_load_dword s8, s[4:5], 0x4
	s_ashr_i32 s7, s6, 31
	s_load_dwordx4 s[16:19], s[4:5], 0x28
	s_load_dword s9, s[4:5], 0x44
	s_waitcnt lgkmcnt(0)
	s_mul_hi_u32 s0, s12, s6
	s_mul_i32 s1, s12, s7
	s_add_i32 s0, s0, s1
	s_mul_i32 s1, s13, s6
	s_add_i32 s1, s0, s1
	s_mul_i32 s0, s12, s6
	s_lshl_b64 s[0:1], s[0:1], 1
	s_add_u32 s2, s16, s0
	v_lshlrev_b32_e32 v1, 3, v0
	s_addc_u32 s3, s17, s1
	v_cmp_gt_u32_e32 vcc, s8, v1
	v_mov_b32_e32 v3, 0
	v_lshlrev_b32_e32 v18, 4, v0
	v_mov_b32_e32 v4, 0
	v_mov_b32_e32 v5, 0
	;; [unrolled: 1-line block ×8, first 2 shown]
	s_and_saveexec_b64 s[0:1], vcc
	s_cbranch_execz .LBB35_2
; %bb.1:
	global_load_dwordx4 v[10:13], v18, s[2:3]
	s_waitcnt vmcnt(0)
	v_lshlrev_b32_e32 v4, 16, v10
	v_lshlrev_b32_e32 v5, 16, v12
	v_and_b32_e32 v6, 0xffff0000, v10
	v_and_b32_e32 v7, 0xffff0000, v12
	v_lshlrev_b32_e32 v8, 16, v11
	v_lshlrev_b32_e32 v9, 16, v13
	v_and_b32_e32 v10, 0xffff0000, v11
	v_and_b32_e32 v11, 0xffff0000, v13
.LBB35_2:
	s_or_b64 exec, exec, s[0:1]
	s_load_dword s12, s[4:5], 0x20
	s_and_b32 s0, 0xffff, s9
	v_add_u32_e32 v1, s0, v0
	v_lshlrev_b32_e32 v2, 3, v1
	v_cmp_gt_u32_e64 s[0:1], s8, v2
	v_lshlrev_b32_e32 v19, 4, v1
	v_mov_b32_e32 v13, 0
	v_mov_b32_e32 v17, 0
	;; [unrolled: 1-line block ×7, first 2 shown]
	s_and_saveexec_b64 s[4:5], s[0:1]
	s_cbranch_execz .LBB35_4
; %bb.3:
	global_load_dwordx4 v[20:23], v19, s[2:3]
	s_waitcnt vmcnt(0)
	v_and_b32_e32 v14, 0xffff0000, v20
	v_lshlrev_b32_e32 v16, 16, v20
	v_and_b32_e32 v12, 0xffff0000, v21
	v_lshlrev_b32_e32 v2, 16, v21
	;; [unrolled: 2-line block ×4, first 2 shown]
.LBB35_4:
	s_or_b64 exec, exec, s[4:5]
	v_pk_add_f32 v[20:21], v[4:5], v[6:7]
	v_pk_add_f32 v[4:5], v[4:5], v[6:7] neg_lo:[0,1] neg_hi:[0,1]
	v_pk_add_f32 v[6:7], v[8:9], v[10:11] neg_lo:[0,1] neg_hi:[0,1]
	v_pk_add_f32 v[22:23], v[8:9], v[10:11]
	v_pk_add_f32 v[8:9], v[4:5], v[6:7]
	v_pk_add_f32 v[4:5], v[4:5], v[6:7] neg_lo:[0,1] neg_hi:[0,1]
	v_pk_add_f32 v[6:7], v[16:17], v[14:15] neg_lo:[0,1] neg_hi:[0,1]
	;; [unrolled: 1-line block ×3, first 2 shown]
	v_pk_add_f32 v[14:15], v[16:17], v[14:15]
	v_pk_add_f32 v[2:3], v[2:3], v[12:13]
	;; [unrolled: 1-line block ×4, first 2 shown]
	v_pk_add_f32 v[20:21], v[20:21], v[22:23] neg_lo:[0,1] neg_hi:[0,1]
	v_pk_add_f32 v[2:3], v[14:15], v[2:3] neg_lo:[0,1] neg_hi:[0,1]
	v_pk_add_f32 v[14:15], v[6:7], v[10:11]
	v_pk_add_f32 v[6:7], v[6:7], v[10:11] neg_lo:[0,1] neg_hi:[0,1]
	v_mov_b32_e32 v10, v25
	v_mov_b32_e32 v22, v13
	v_pk_add_f32 v[16:17], v[24:25], v[10:11]
	v_pk_add_f32 v[10:11], v[24:25], v[10:11] neg_lo:[0,1] neg_hi:[0,1]
	v_pk_add_f32 v[24:25], v[12:13], v[22:23]
	v_pk_add_f32 v[12:13], v[12:13], v[22:23] neg_lo:[0,1] neg_hi:[0,1]
	v_mov_b32_e32 v22, v9
	v_pk_add_f32 v[26:27], v[8:9], v[22:23]
	v_pk_add_f32 v[8:9], v[8:9], v[22:23] neg_lo:[0,1] neg_hi:[0,1]
	v_mov_b32_e32 v22, v15
	;; [unrolled: 3-line block ×6, first 2 shown]
	v_mbcnt_lo_u32_b32 v1, -1, 0
	v_pk_add_f32 v[36:37], v[6:7], v[2:3]
	v_pk_add_f32 v[6:7], v[6:7], v[2:3] neg_lo:[0,1] neg_hi:[0,1]
	v_mbcnt_hi_u32_b32 v3, -1, v1
	v_and_b32_e32 v1, 64, v3
	v_add_u32_e32 v38, 64, v1
	v_xor_b32_e32 v1, 1, v3
	v_cmp_lt_i32_e64 s[2:3], v1, v38
	v_cndmask_b32_e64 v1, v3, v1, s[2:3]
	v_lshlrev_b32_e32 v2, 2, v1
	ds_bpermute_b32 v1, v2, v16
	v_and_b32_e32 v5, 1, v0
	v_cmp_eq_u32_e64 s[2:3], 0, v5
	ds_bpermute_b32 v7, v2, v26
	v_cndmask_b32_e64 v5, -v16, v16, s[2:3]
	s_waitcnt lgkmcnt(0)
	v_add_f32_e32 v5, v5, v1
	ds_bpermute_b32 v1, v2, v30
	v_cndmask_b32_e64 v9, -v26, v26, s[2:3]
	v_add_f32_e32 v7, v9, v7
	ds_bpermute_b32 v9, v2, v34
	v_cndmask_b32_e64 v11, -v30, v30, s[2:3]
	s_waitcnt lgkmcnt(1)
	v_add_f32_e32 v11, v11, v1
	ds_bpermute_b32 v1, v2, v10
	v_cndmask_b32_e64 v13, -v34, v34, s[2:3]
	s_waitcnt lgkmcnt(1)
	v_add_f32_e32 v9, v13, v9
	ds_bpermute_b32 v13, v2, v8
	v_cndmask_b32_e64 v10, -v10, v10, s[2:3]
	s_waitcnt lgkmcnt(1)
	v_add_f32_e32 v10, v10, v1
	ds_bpermute_b32 v1, v2, v20
	v_cndmask_b32_e64 v8, -v8, v8, s[2:3]
	s_waitcnt lgkmcnt(1)
	v_add_f32_e32 v8, v8, v13
	ds_bpermute_b32 v13, v2, v4
	v_cndmask_b32_e64 v15, -v20, v20, s[2:3]
	s_waitcnt lgkmcnt(1)
	v_add_f32_e32 v15, v15, v1
	ds_bpermute_b32 v1, v2, v24
	v_cndmask_b32_e64 v4, -v4, v4, s[2:3]
	s_waitcnt lgkmcnt(1)
	v_add_f32_e32 v4, v4, v13
	ds_bpermute_b32 v13, v2, v28
	v_cndmask_b32_e64 v16, -v24, v24, s[2:3]
	s_waitcnt lgkmcnt(1)
	v_add_f32_e32 v16, v16, v1
	ds_bpermute_b32 v1, v2, v32
	v_cndmask_b32_e64 v17, -v28, v28, s[2:3]
	s_waitcnt lgkmcnt(1)
	v_add_f32_e32 v13, v17, v13
	ds_bpermute_b32 v17, v2, v36
	v_cndmask_b32_e64 v20, -v32, v32, s[2:3]
	s_waitcnt lgkmcnt(1)
	v_add_f32_e32 v20, v20, v1
	ds_bpermute_b32 v1, v2, v12
	v_cndmask_b32_e64 v21, -v36, v36, s[2:3]
	s_waitcnt lgkmcnt(1)
	v_add_f32_e32 v17, v21, v17
	v_cndmask_b32_e64 v12, -v12, v12, s[2:3]
	ds_bpermute_b32 v21, v2, v14
	s_waitcnt lgkmcnt(1)
	v_add_f32_e32 v12, v12, v1
	ds_bpermute_b32 v1, v2, v22
	ds_bpermute_b32 v23, v2, v6
	v_cndmask_b32_e64 v14, -v14, v14, s[2:3]
	s_waitcnt lgkmcnt(2)
	v_add_f32_e32 v14, v14, v21
	v_cndmask_b32_e64 v21, -v22, v22, s[2:3]
	s_waitcnt lgkmcnt(1)
	v_add_f32_e32 v21, v21, v1
	;; [unrolled: 3-line block ×3, first 2 shown]
	v_xor_b32_e32 v1, 2, v3
	v_cmp_lt_i32_e64 s[4:5], v1, v38
	v_cndmask_b32_e64 v1, v3, v1, s[4:5]
	v_lshlrev_b32_e32 v1, 2, v1
	ds_bpermute_b32 v22, v1, v5
	v_and_b32_e32 v23, 2, v0
	v_cmp_eq_u32_e64 s[4:5], 0, v23
	v_cndmask_b32_e64 v5, -v5, v5, s[4:5]
	ds_bpermute_b32 v23, v1, v9
	s_waitcnt lgkmcnt(1)
	v_add_f32_e32 v5, v5, v22
	ds_bpermute_b32 v22, v1, v11
	v_cndmask_b32_e64 v11, -v11, v11, s[4:5]
	v_cndmask_b32_e64 v9, -v9, v9, s[4:5]
	s_waitcnt lgkmcnt(1)
	v_add_f32_e32 v9, v9, v23
	ds_bpermute_b32 v23, v1, v8
	s_waitcnt lgkmcnt(1)
	v_add_f32_e32 v11, v11, v22
	ds_bpermute_b32 v22, v1, v10
	v_cndmask_b32_e64 v10, -v10, v10, s[4:5]
	v_cndmask_b32_e64 v8, -v8, v8, s[4:5]
	s_waitcnt lgkmcnt(1)
	v_add_f32_e32 v8, v8, v23
	;; [unrolled: 8-line block ×4, first 2 shown]
	ds_bpermute_b32 v23, v1, v17
	s_waitcnt lgkmcnt(1)
	v_add_f32_e32 v16, v16, v22
	ds_bpermute_b32 v22, v1, v20
	v_cndmask_b32_e64 v20, -v20, v20, s[4:5]
	ds_bpermute_b32 v24, v1, v7
	v_cndmask_b32_e64 v17, -v17, v17, s[4:5]
	s_waitcnt lgkmcnt(2)
	v_add_f32_e32 v17, v17, v23
	s_waitcnt lgkmcnt(1)
	v_add_f32_e32 v20, v20, v22
	ds_bpermute_b32 v22, v1, v12
	v_cndmask_b32_e64 v12, -v12, v12, s[4:5]
	ds_bpermute_b32 v23, v1, v14
	v_cndmask_b32_e64 v7, -v7, v7, s[4:5]
	s_waitcnt lgkmcnt(2)
	v_add_f32_e32 v7, v7, v24
	;; [unrolled: 8-line block ×3, first 2 shown]
	s_waitcnt lgkmcnt(1)
	v_add_f32_e32 v21, v21, v22
	v_xor_b32_e32 v22, 4, v3
	v_cmp_lt_i32_e64 s[8:9], v22, v38
	v_cndmask_b32_e64 v22, v3, v22, s[8:9]
	v_lshlrev_b32_e32 v22, 2, v22
	ds_bpermute_b32 v23, v22, v5
	v_cndmask_b32_e64 v6, -v6, v6, s[4:5]
	s_waitcnt lgkmcnt(1)
	v_add_f32_e32 v6, v6, v24
	v_and_b32_e32 v24, 4, v0
	v_cmp_eq_u32_e64 s[8:9], 0, v24
	v_cndmask_b32_e64 v5, -v5, v5, s[8:9]
	s_waitcnt lgkmcnt(0)
	v_add_f32_e32 v5, v5, v23
	ds_bpermute_b32 v23, v22, v11
	ds_bpermute_b32 v24, v22, v9
	v_cndmask_b32_e64 v11, -v11, v11, s[8:9]
	v_cndmask_b32_e64 v9, -v9, v9, s[8:9]
	ds_bpermute_b32 v25, v22, v7
	s_waitcnt lgkmcnt(2)
	v_add_f32_e32 v11, v11, v23
	ds_bpermute_b32 v23, v22, v10
	s_waitcnt lgkmcnt(2)
	v_add_f32_e32 v24, v9, v24
	ds_bpermute_b32 v9, v22, v8
	v_cndmask_b32_e64 v10, -v10, v10, s[8:9]
	v_cndmask_b32_e64 v7, -v7, v7, s[8:9]
	s_waitcnt lgkmcnt(1)
	v_add_f32_e32 v23, v10, v23
	ds_bpermute_b32 v10, v22, v15
	v_cndmask_b32_e64 v8, -v8, v8, s[8:9]
	v_add_f32_e32 v7, v7, v25
	s_waitcnt lgkmcnt(1)
	v_add_f32_e32 v25, v8, v9
	ds_bpermute_b32 v8, v22, v4
	v_cndmask_b32_e64 v9, -v15, v15, s[8:9]
	s_waitcnt lgkmcnt(1)
	v_add_f32_e32 v26, v9, v10
	ds_bpermute_b32 v9, v22, v16
	v_cndmask_b32_e64 v4, -v4, v4, s[8:9]
	;; [unrolled: 4-line block ×6, first 2 shown]
	s_waitcnt lgkmcnt(1)
	v_add_f32_e32 v31, v9, v4
	v_cndmask_b32_e64 v4, -v12, v12, s[8:9]
	ds_bpermute_b32 v9, v22, v14
	s_waitcnt lgkmcnt(1)
	v_add_f32_e32 v32, v4, v8
	ds_bpermute_b32 v4, v22, v21
	ds_bpermute_b32 v10, v22, v6
	v_cndmask_b32_e64 v8, -v14, v14, s[8:9]
	s_waitcnt lgkmcnt(2)
	v_add_f32_e32 v33, v8, v9
	v_cndmask_b32_e64 v8, -v21, v21, s[8:9]
	s_waitcnt lgkmcnt(1)
	v_add_f32_e32 v35, v8, v4
	;; [unrolled: 3-line block ×3, first 2 shown]
	v_xor_b32_e32 v4, 8, v3
	v_cmp_lt_i32_e64 s[8:9], v4, v38
	v_and_b32_e32 v6, 8, v0
	v_cndmask_b32_e64 v4, v3, v4, s[8:9]
	v_lshlrev_b32_e32 v39, 2, v4
	v_cmp_eq_u32_e64 s[8:9], 0, v6
	ds_bpermute_b32 v4, v39, v5
	v_cndmask_b32_e64 v6, -v5, v5, s[8:9]
	ds_bpermute_b32 v5, v39, v7
	v_xor_b32_e32 v40, 16, v3
	v_cndmask_b32_e64 v7, -v7, v7, s[8:9]
	ds_bpermute_b32 v8, v39, v11
	v_cndmask_b32_e64 v10, -v11, v11, s[8:9]
	ds_bpermute_b32 v9, v39, v24
	;; [unrolled: 2-line block ×14, first 2 shown]
	v_cndmask_b32_e64 v37, -v37, v37, s[8:9]
	v_cmp_lt_i32_e64 s[8:9], v40, v38
	v_cndmask_b32_e64 v40, v3, v40, s[8:9]
	v_lshlrev_b32_e32 v40, 2, v40
	s_waitcnt lgkmcnt(14)
	v_pk_add_f32 v[4:5], v[6:7], v[4:5]
	ds_bpermute_b32 v6, v40, v4
	ds_bpermute_b32 v7, v40, v5
	v_xor_b32_e32 v42, 32, v3
	v_and_b32_e32 v39, 16, v0
	v_cmp_lt_i32_e64 s[8:9], v42, v38
	v_cndmask_b32_e64 v3, v3, v42, s[8:9]
	v_cmp_eq_u32_e64 s[8:9], 0, v39
	v_cndmask_b32_e64 v5, -v5, v5, s[8:9]
	v_cndmask_b32_e64 v4, -v4, v4, s[8:9]
	v_lshlrev_b32_e32 v3, 2, v3
	s_waitcnt lgkmcnt(0)
	v_pk_add_f32 v[4:5], v[4:5], v[6:7]
	ds_bpermute_b32 v6, v3, v4
	ds_bpermute_b32 v7, v3, v5
	v_pk_add_f32 v[8:9], v[10:11], v[8:9]
	ds_bpermute_b32 v10, v40, v8
	ds_bpermute_b32 v11, v40, v9
	v_and_b32_e32 v41, 32, v0
	v_cmp_eq_u32_e64 s[10:11], 0, v41
	v_cndmask_b32_e64 v5, -v5, v5, s[10:11]
	v_cndmask_b32_e64 v4, -v4, v4, s[10:11]
	s_waitcnt lgkmcnt(2)
	v_pk_add_f32 v[4:5], v[4:5], v[6:7]
	v_cndmask_b32_e64 v7, -v9, v9, s[8:9]
	v_cndmask_b32_e64 v6, -v8, v8, s[8:9]
	s_waitcnt lgkmcnt(0)
	v_pk_add_f32 v[6:7], v[6:7], v[10:11]
	ds_bpermute_b32 v8, v3, v6
	ds_bpermute_b32 v9, v3, v7
	v_pk_add_f32 v[10:11], v[14:15], v[12:13]
	ds_bpermute_b32 v12, v40, v10
	ds_bpermute_b32 v13, v40, v11
	v_lshrrev_b32_e32 v38, 6, v0
	v_xor_b32_e32 v38, v38, v0
	v_cndmask_b32_e64 v7, -v7, v7, s[10:11]
	v_cndmask_b32_e64 v6, -v6, v6, s[10:11]
	v_lshl_add_u32 v38, v38, 4, 0
	s_waitcnt lgkmcnt(2)
	v_pk_add_f32 v[6:7], v[6:7], v[8:9]
	s_waitcnt lgkmcnt(0)
	s_barrier
	ds_write_b128 v38, v[4:7]
	v_cndmask_b32_e64 v5, -v11, v11, s[8:9]
	v_cndmask_b32_e64 v4, -v10, v10, s[8:9]
	v_pk_add_f32 v[4:5], v[4:5], v[12:13]
	ds_bpermute_b32 v6, v3, v4
	ds_bpermute_b32 v7, v3, v5
	v_pk_add_f32 v[8:9], v[20:21], v[16:17]
	ds_bpermute_b32 v10, v40, v8
	ds_bpermute_b32 v11, v40, v9
	v_cndmask_b32_e64 v5, -v5, v5, s[10:11]
	v_cndmask_b32_e64 v4, -v4, v4, s[10:11]
	s_waitcnt lgkmcnt(2)
	v_pk_add_f32 v[4:5], v[4:5], v[6:7]
	v_cndmask_b32_e64 v7, -v9, v9, s[8:9]
	v_cndmask_b32_e64 v6, -v8, v8, s[8:9]
	s_waitcnt lgkmcnt(0)
	v_pk_add_f32 v[6:7], v[6:7], v[10:11]
	ds_bpermute_b32 v8, v3, v6
	ds_bpermute_b32 v9, v3, v7
	v_pk_add_f32 v[10:11], v[24:25], v[22:23]
	ds_bpermute_b32 v12, v40, v10
	ds_bpermute_b32 v13, v40, v11
	v_cndmask_b32_e64 v7, -v7, v7, s[10:11]
	v_cndmask_b32_e64 v6, -v6, v6, s[10:11]
	s_waitcnt lgkmcnt(2)
	v_pk_add_f32 v[6:7], v[6:7], v[8:9]
	ds_write_b128 v38, v[4:7] offset:4096
	v_cndmask_b32_e64 v5, -v11, v11, s[8:9]
	v_cndmask_b32_e64 v4, -v10, v10, s[8:9]
	s_waitcnt lgkmcnt(1)
	v_pk_add_f32 v[4:5], v[4:5], v[12:13]
	ds_bpermute_b32 v6, v3, v4
	ds_bpermute_b32 v7, v3, v5
	v_pk_add_f32 v[8:9], v[28:29], v[26:27]
	ds_bpermute_b32 v10, v40, v8
	ds_bpermute_b32 v11, v40, v9
	v_cndmask_b32_e64 v5, -v5, v5, s[10:11]
	v_cndmask_b32_e64 v4, -v4, v4, s[10:11]
	s_waitcnt lgkmcnt(2)
	v_pk_add_f32 v[4:5], v[4:5], v[6:7]
	v_cndmask_b32_e64 v7, -v9, v9, s[8:9]
	v_cndmask_b32_e64 v6, -v8, v8, s[8:9]
	s_waitcnt lgkmcnt(0)
	v_pk_add_f32 v[6:7], v[6:7], v[10:11]
	ds_bpermute_b32 v8, v3, v6
	ds_bpermute_b32 v9, v3, v7
	v_cndmask_b32_e64 v7, -v7, v7, s[10:11]
	v_cndmask_b32_e64 v6, -v6, v6, s[10:11]
	v_pk_add_f32 v[10:11], v[32:33], v[30:31]
	ds_bpermute_b32 v12, v40, v10
	ds_bpermute_b32 v13, v40, v11
	s_waitcnt lgkmcnt(2)
	v_pk_add_f32 v[6:7], v[6:7], v[8:9]
	v_pk_add_f32 v[8:9], v[36:37], v[34:35]
	ds_write_b128 v38, v[4:7] offset:8192
	v_cndmask_b32_e64 v5, -v11, v11, s[8:9]
	v_cndmask_b32_e64 v4, -v10, v10, s[8:9]
	ds_bpermute_b32 v10, v40, v8
	ds_bpermute_b32 v11, v40, v9
	s_waitcnt lgkmcnt(3)
	v_pk_add_f32 v[4:5], v[4:5], v[12:13]
	v_cndmask_b32_e64 v9, -v9, v9, s[8:9]
	v_cndmask_b32_e64 v8, -v8, v8, s[8:9]
	ds_bpermute_b32 v6, v3, v4
	ds_bpermute_b32 v7, v3, v5
	s_waitcnt lgkmcnt(2)
	v_pk_add_f32 v[8:9], v[8:9], v[10:11]
	ds_bpermute_b32 v10, v3, v8
	ds_bpermute_b32 v11, v3, v9
	v_and_b32_e32 v42, 3, v0
	v_lshrrev_b32_e32 v0, 2, v0
	v_cndmask_b32_e64 v5, -v5, v5, s[10:11]
	v_cndmask_b32_e64 v4, -v4, v4, s[10:11]
	v_lshl_or_b32 v0, v42, 6, v0
	s_waitcnt lgkmcnt(2)
	v_pk_add_f32 v[4:5], v[4:5], v[6:7]
	v_cndmask_b32_e64 v7, -v9, v9, s[10:11]
	v_cndmask_b32_e64 v6, -v8, v8, s[10:11]
	v_xor_b32_e32 v0, v0, v42
	s_waitcnt lgkmcnt(0)
	v_pk_add_f32 v[6:7], v[6:7], v[10:11]
	v_lshl_add_u32 v39, v0, 4, 0
	ds_write_b128 v38, v[4:7] offset:12288
	s_waitcnt lgkmcnt(0)
	s_barrier
	ds_read_b128 v[4:7], v39
	ds_read_b128 v[8:11], v39 offset:4096
	ds_read_b128 v[12:15], v39 offset:8192
	;; [unrolled: 1-line block ×3, first 2 shown]
	s_waitcnt lgkmcnt(0)
	ds_bpermute_b32 v16, v2, v4
	ds_bpermute_b32 v17, v2, v5
	;; [unrolled: 1-line block ×16, first 2 shown]
	v_cndmask_b32_e64 v3, -v5, v5, s[2:3]
	v_cndmask_b32_e64 v2, -v4, v4, s[2:3]
	;; [unrolled: 1-line block ×4, first 2 shown]
	s_waitcnt lgkmcnt(12)
	v_pk_add_f32 v[4:5], v[4:5], v[24:25]
	v_pk_add_f32 v[2:3], v[2:3], v[16:17]
	ds_bpermute_b32 v6, v1, v2
	ds_bpermute_b32 v7, v1, v3
	;; [unrolled: 1-line block ×4, first 2 shown]
	v_cndmask_b32_e64 v3, -v3, v3, s[4:5]
	v_cndmask_b32_e64 v2, -v2, v2, s[4:5]
	;; [unrolled: 1-line block ×4, first 2 shown]
	s_waitcnt lgkmcnt(0)
	v_pk_add_f32 v[4:5], v[4:5], v[16:17]
	v_pk_add_f32 v[2:3], v[2:3], v[6:7]
	s_barrier
	ds_write_b128 v39, v[2:5]
	v_cndmask_b32_e64 v3, -v9, v9, s[2:3]
	v_cndmask_b32_e64 v2, -v8, v8, s[2:3]
	v_cndmask_b32_e64 v5, -v11, v11, s[2:3]
	v_cndmask_b32_e64 v4, -v10, v10, s[2:3]
	v_pk_add_f32 v[4:5], v[4:5], v[28:29]
	v_pk_add_f32 v[2:3], v[2:3], v[26:27]
	ds_bpermute_b32 v6, v1, v2
	ds_bpermute_b32 v7, v1, v3
	ds_bpermute_b32 v8, v1, v4
	ds_bpermute_b32 v9, v1, v5
	v_cndmask_b32_e64 v3, -v3, v3, s[4:5]
	v_cndmask_b32_e64 v2, -v2, v2, s[4:5]
	v_cndmask_b32_e64 v5, -v5, v5, s[4:5]
	v_cndmask_b32_e64 v4, -v4, v4, s[4:5]
	s_waitcnt lgkmcnt(0)
	v_pk_add_f32 v[4:5], v[4:5], v[8:9]
	v_pk_add_f32 v[2:3], v[2:3], v[6:7]
	ds_write_b128 v39, v[2:5] offset:4096
	v_cndmask_b32_e64 v3, -v13, v13, s[2:3]
	v_cndmask_b32_e64 v2, -v12, v12, s[2:3]
	v_cndmask_b32_e64 v5, -v15, v15, s[2:3]
	v_cndmask_b32_e64 v4, -v14, v14, s[2:3]
	v_pk_add_f32 v[4:5], v[4:5], v[32:33]
	v_pk_add_f32 v[2:3], v[2:3], v[30:31]
	ds_bpermute_b32 v6, v1, v2
	ds_bpermute_b32 v7, v1, v3
	ds_bpermute_b32 v8, v1, v4
	ds_bpermute_b32 v9, v1, v5
	v_cndmask_b32_e64 v3, -v3, v3, s[4:5]
	v_cndmask_b32_e64 v2, -v2, v2, s[4:5]
	v_cndmask_b32_e64 v5, -v5, v5, s[4:5]
	v_cndmask_b32_e64 v4, -v4, v4, s[4:5]
	s_waitcnt lgkmcnt(0)
	v_pk_add_f32 v[4:5], v[4:5], v[8:9]
	v_pk_add_f32 v[2:3], v[2:3], v[6:7]
	ds_write_b128 v39, v[2:5] offset:8192
	;; [unrolled: 18-line block ×3, first 2 shown]
	s_waitcnt lgkmcnt(0)
	s_barrier
	ds_read_b128 v[8:11], v38 offset:8192
	ds_read_b128 v[12:15], v38
	ds_read_b128 v[0:3], v38 offset:4096
	ds_read_b128 v[4:7], v38 offset:12288
	s_mov_b32 s2, 0x7f800000
	s_waitcnt lgkmcnt(2)
	v_add_f32_e32 v16, v12, v8
	v_mul_f32_e32 v17, s12, v16
	v_and_b32_e32 v16, 0x7f800000, v17
	v_cmp_ne_u32_e64 s[2:3], s2, v16
                                        ; implicit-def: $vgpr16
	s_and_saveexec_b64 s[4:5], s[2:3]
	s_xor_b64 s[2:3], exec, s[4:5]
; %bb.5:
	v_bfe_u32 v16, v17, 16, 1
	s_movk_i32 s4, 0x7fff
	v_add3_u32 v16, v17, v16, s4
                                        ; implicit-def: $vgpr17
; %bb.6:
	s_andn2_saveexec_b64 s[4:5], s[2:3]
; %bb.7:
	v_mov_b32_e32 v16, 0
	v_or_b32_e32 v20, 0x10000, v17
	v_cmp_eq_u32_sdwa s[2:3], v17, v16 src0_sel:WORD_0 src1_sel:DWORD
	v_cndmask_b32_e64 v16, v20, v17, s[2:3]
; %bb.8:
	s_or_b64 exec, exec, s[4:5]
	v_add_f32_e32 v17, v13, v9
	v_mul_f32_e32 v20, s12, v17
	s_mov_b32 s2, 0x7f800000
	v_and_b32_e32 v17, 0x7f800000, v20
	v_cmp_ne_u32_e64 s[2:3], s2, v17
                                        ; implicit-def: $vgpr17
	s_and_saveexec_b64 s[4:5], s[2:3]
	s_xor_b64 s[2:3], exec, s[4:5]
; %bb.9:
	v_bfe_u32 v17, v20, 16, 1
	s_movk_i32 s4, 0x7fff
	v_add3_u32 v17, v20, v17, s4
                                        ; implicit-def: $vgpr20
; %bb.10:
	s_andn2_saveexec_b64 s[4:5], s[2:3]
; %bb.11:
	v_mov_b32_e32 v17, 0
	v_or_b32_e32 v21, 0x10000, v20
	v_cmp_eq_u32_sdwa s[2:3], v20, v17 src0_sel:WORD_0 src1_sel:DWORD
	v_cndmask_b32_e64 v17, v21, v20, s[2:3]
; %bb.12:
	s_or_b64 exec, exec, s[4:5]
	v_add_f32_e32 v20, v14, v10
	v_mul_f32_e32 v21, s12, v20
	s_mov_b32 s2, 0x7f800000
	v_and_b32_e32 v20, 0x7f800000, v21
	v_cmp_ne_u32_e64 s[2:3], s2, v20
                                        ; implicit-def: $vgpr20
	s_and_saveexec_b64 s[4:5], s[2:3]
	s_xor_b64 s[2:3], exec, s[4:5]
; %bb.13:
	v_bfe_u32 v20, v21, 16, 1
	s_movk_i32 s4, 0x7fff
	v_add3_u32 v20, v21, v20, s4
                                        ; implicit-def: $vgpr21
; %bb.14:
	s_andn2_saveexec_b64 s[4:5], s[2:3]
; %bb.15:
	v_mov_b32_e32 v20, 0
	v_or_b32_e32 v22, 0x10000, v21
	v_cmp_eq_u32_sdwa s[2:3], v21, v20 src0_sel:WORD_0 src1_sel:DWORD
	v_cndmask_b32_e64 v20, v22, v21, s[2:3]
; %bb.16:
	s_or_b64 exec, exec, s[4:5]
	v_add_f32_e32 v21, v15, v11
	v_mul_f32_e32 v22, s12, v21
	s_mov_b32 s2, 0x7f800000
	v_and_b32_e32 v21, 0x7f800000, v22
	v_cmp_ne_u32_e64 s[2:3], s2, v21
                                        ; implicit-def: $vgpr21
	s_and_saveexec_b64 s[4:5], s[2:3]
	s_xor_b64 s[2:3], exec, s[4:5]
; %bb.17:
	v_bfe_u32 v21, v22, 16, 1
	s_movk_i32 s4, 0x7fff
	v_add3_u32 v21, v22, v21, s4
                                        ; implicit-def: $vgpr22
; %bb.18:
	s_andn2_saveexec_b64 s[4:5], s[2:3]
; %bb.19:
	v_mov_b32_e32 v21, 0
	v_or_b32_e32 v23, 0x10000, v22
	v_cmp_eq_u32_sdwa s[2:3], v22, v21 src0_sel:WORD_0 src1_sel:DWORD
	v_cndmask_b32_e64 v21, v23, v22, s[2:3]
; %bb.20:
	s_or_b64 exec, exec, s[4:5]
	s_waitcnt lgkmcnt(0)
	v_add_f32_e32 v22, v0, v4
	v_mul_f32_e32 v23, s12, v22
	s_mov_b32 s2, 0x7f800000
	v_and_b32_e32 v22, 0x7f800000, v23
	v_cmp_ne_u32_e64 s[2:3], s2, v22
                                        ; implicit-def: $vgpr22
	s_and_saveexec_b64 s[4:5], s[2:3]
	s_xor_b64 s[2:3], exec, s[4:5]
; %bb.21:
	v_bfe_u32 v22, v23, 16, 1
	s_movk_i32 s4, 0x7fff
	v_add3_u32 v22, v23, v22, s4
                                        ; implicit-def: $vgpr23
; %bb.22:
	s_andn2_saveexec_b64 s[4:5], s[2:3]
; %bb.23:
	v_mov_b32_e32 v22, 0
	v_or_b32_e32 v24, 0x10000, v23
	v_cmp_eq_u32_sdwa s[2:3], v23, v22 src0_sel:WORD_0 src1_sel:DWORD
	v_cndmask_b32_e64 v22, v24, v23, s[2:3]
; %bb.24:
	s_or_b64 exec, exec, s[4:5]
	v_add_f32_e32 v23, v1, v5
	v_mul_f32_e32 v24, s12, v23
	s_mov_b32 s2, 0x7f800000
	v_and_b32_e32 v23, 0x7f800000, v24
	v_cmp_ne_u32_e64 s[2:3], s2, v23
                                        ; implicit-def: $vgpr23
	s_and_saveexec_b64 s[4:5], s[2:3]
	s_xor_b64 s[2:3], exec, s[4:5]
; %bb.25:
	v_bfe_u32 v23, v24, 16, 1
	s_movk_i32 s4, 0x7fff
	v_add3_u32 v23, v24, v23, s4
                                        ; implicit-def: $vgpr24
; %bb.26:
	s_andn2_saveexec_b64 s[4:5], s[2:3]
; %bb.27:
	v_mov_b32_e32 v23, 0
	v_or_b32_e32 v25, 0x10000, v24
	v_cmp_eq_u32_sdwa s[2:3], v24, v23 src0_sel:WORD_0 src1_sel:DWORD
	v_cndmask_b32_e64 v23, v25, v24, s[2:3]
; %bb.28:
	s_or_b64 exec, exec, s[4:5]
	v_add_f32_e32 v24, v2, v6
	v_mul_f32_e32 v25, s12, v24
	s_mov_b32 s2, 0x7f800000
	v_and_b32_e32 v24, 0x7f800000, v25
	v_cmp_ne_u32_e64 s[2:3], s2, v24
                                        ; implicit-def: $vgpr24
	s_and_saveexec_b64 s[4:5], s[2:3]
	s_xor_b64 s[2:3], exec, s[4:5]
; %bb.29:
	v_bfe_u32 v24, v25, 16, 1
	s_movk_i32 s4, 0x7fff
	v_add3_u32 v24, v25, v24, s4
                                        ; implicit-def: $vgpr25
; %bb.30:
	s_andn2_saveexec_b64 s[4:5], s[2:3]
; %bb.31:
	v_mov_b32_e32 v24, 0
	v_or_b32_e32 v26, 0x10000, v25
	v_cmp_eq_u32_sdwa s[2:3], v25, v24 src0_sel:WORD_0 src1_sel:DWORD
	v_cndmask_b32_e64 v24, v26, v25, s[2:3]
; %bb.32:
	s_or_b64 exec, exec, s[4:5]
	v_add_f32_e32 v25, v3, v7
	v_mul_f32_e32 v26, s12, v25
	s_mov_b32 s2, 0x7f800000
	v_and_b32_e32 v25, 0x7f800000, v26
	v_cmp_ne_u32_e64 s[2:3], s2, v25
                                        ; implicit-def: $vgpr25
	s_and_saveexec_b64 s[4:5], s[2:3]
	s_xor_b64 s[2:3], exec, s[4:5]
; %bb.33:
	v_bfe_u32 v25, v26, 16, 1
	s_movk_i32 s4, 0x7fff
	v_add3_u32 v25, v26, v25, s4
                                        ; implicit-def: $vgpr26
; %bb.34:
	s_andn2_saveexec_b64 s[4:5], s[2:3]
; %bb.35:
	v_mov_b32_e32 v25, 0
	v_or_b32_e32 v27, 0x10000, v26
	v_cmp_eq_u32_sdwa s[2:3], v26, v25 src0_sel:WORD_0 src1_sel:DWORD
	v_cndmask_b32_e64 v25, v27, v26, s[2:3]
; %bb.36:
	s_or_b64 exec, exec, s[4:5]
	v_sub_f32_e32 v8, v12, v8
	v_mul_f32_e32 v12, s12, v8
	s_mov_b32 s2, 0x7f800000
	v_and_b32_e32 v8, 0x7f800000, v12
	v_cmp_ne_u32_e64 s[2:3], s2, v8
                                        ; implicit-def: $vgpr8
	s_and_saveexec_b64 s[4:5], s[2:3]
	s_xor_b64 s[2:3], exec, s[4:5]
; %bb.37:
	v_bfe_u32 v8, v12, 16, 1
	s_movk_i32 s4, 0x7fff
	v_add3_u32 v8, v12, v8, s4
                                        ; implicit-def: $vgpr12
; %bb.38:
	s_andn2_saveexec_b64 s[4:5], s[2:3]
; %bb.39:
	v_mov_b32_e32 v8, 0
	v_or_b32_e32 v26, 0x10000, v12
	v_cmp_eq_u32_sdwa s[2:3], v12, v8 src0_sel:WORD_0 src1_sel:DWORD
	v_cndmask_b32_e64 v8, v26, v12, s[2:3]
; %bb.40:
	s_or_b64 exec, exec, s[4:5]
	v_sub_f32_e32 v9, v13, v9
	v_mul_f32_e32 v12, s12, v9
	s_mov_b32 s2, 0x7f800000
	v_and_b32_e32 v9, 0x7f800000, v12
	v_cmp_ne_u32_e64 s[2:3], s2, v9
                                        ; implicit-def: $vgpr9
	s_and_saveexec_b64 s[4:5], s[2:3]
	s_xor_b64 s[2:3], exec, s[4:5]
; %bb.41:
	v_bfe_u32 v9, v12, 16, 1
	s_movk_i32 s4, 0x7fff
	v_add3_u32 v9, v12, v9, s4
                                        ; implicit-def: $vgpr12
; %bb.42:
	s_andn2_saveexec_b64 s[4:5], s[2:3]
; %bb.43:
	v_mov_b32_e32 v9, 0
	v_or_b32_e32 v13, 0x10000, v12
	v_cmp_eq_u32_sdwa s[2:3], v12, v9 src0_sel:WORD_0 src1_sel:DWORD
	v_cndmask_b32_e64 v9, v13, v12, s[2:3]
; %bb.44:
	s_or_b64 exec, exec, s[4:5]
	v_sub_f32_e32 v10, v14, v10
	v_mul_f32_e32 v12, s12, v10
	s_mov_b32 s2, 0x7f800000
	v_and_b32_e32 v10, 0x7f800000, v12
	v_cmp_ne_u32_e64 s[2:3], s2, v10
                                        ; implicit-def: $vgpr10
	s_and_saveexec_b64 s[4:5], s[2:3]
	s_xor_b64 s[2:3], exec, s[4:5]
; %bb.45:
	v_bfe_u32 v10, v12, 16, 1
	s_movk_i32 s4, 0x7fff
	v_add3_u32 v10, v12, v10, s4
                                        ; implicit-def: $vgpr12
; %bb.46:
	s_andn2_saveexec_b64 s[4:5], s[2:3]
; %bb.47:
	v_mov_b32_e32 v10, 0
	v_or_b32_e32 v13, 0x10000, v12
	v_cmp_eq_u32_sdwa s[2:3], v12, v10 src0_sel:WORD_0 src1_sel:DWORD
	v_cndmask_b32_e64 v10, v13, v12, s[2:3]
; %bb.48:
	s_or_b64 exec, exec, s[4:5]
	v_sub_f32_e32 v11, v15, v11
	v_mul_f32_e32 v12, s12, v11
	s_mov_b32 s2, 0x7f800000
	v_and_b32_e32 v11, 0x7f800000, v12
	v_cmp_ne_u32_e64 s[2:3], s2, v11
                                        ; implicit-def: $vgpr11
	s_and_saveexec_b64 s[4:5], s[2:3]
	s_xor_b64 s[2:3], exec, s[4:5]
; %bb.49:
	v_bfe_u32 v11, v12, 16, 1
	s_movk_i32 s4, 0x7fff
	v_add3_u32 v11, v12, v11, s4
                                        ; implicit-def: $vgpr12
; %bb.50:
	s_andn2_saveexec_b64 s[4:5], s[2:3]
; %bb.51:
	v_mov_b32_e32 v11, 0
	v_or_b32_e32 v13, 0x10000, v12
	v_cmp_eq_u32_sdwa s[2:3], v12, v11 src0_sel:WORD_0 src1_sel:DWORD
	v_cndmask_b32_e64 v11, v13, v12, s[2:3]
; %bb.52:
	s_or_b64 exec, exec, s[4:5]
	v_sub_f32_e32 v0, v0, v4
	v_mul_f32_e32 v4, s12, v0
	s_mov_b32 s2, 0x7f800000
	v_and_b32_e32 v0, 0x7f800000, v4
	v_cmp_ne_u32_e64 s[2:3], s2, v0
                                        ; implicit-def: $vgpr0
	s_and_saveexec_b64 s[4:5], s[2:3]
	s_xor_b64 s[2:3], exec, s[4:5]
; %bb.53:
	v_bfe_u32 v0, v4, 16, 1
	s_movk_i32 s4, 0x7fff
	v_add3_u32 v0, v4, v0, s4
                                        ; implicit-def: $vgpr4
; %bb.54:
	s_andn2_saveexec_b64 s[4:5], s[2:3]
; %bb.55:
	v_mov_b32_e32 v0, 0
	v_or_b32_e32 v12, 0x10000, v4
	v_cmp_eq_u32_sdwa s[2:3], v4, v0 src0_sel:WORD_0 src1_sel:DWORD
	v_cndmask_b32_e64 v0, v12, v4, s[2:3]
; %bb.56:
	s_or_b64 exec, exec, s[4:5]
	v_sub_f32_e32 v1, v1, v5
	v_mul_f32_e32 v4, s12, v1
	s_mov_b32 s2, 0x7f800000
	v_and_b32_e32 v1, 0x7f800000, v4
	v_cmp_ne_u32_e64 s[2:3], s2, v1
                                        ; implicit-def: $vgpr1
	s_and_saveexec_b64 s[4:5], s[2:3]
	s_xor_b64 s[2:3], exec, s[4:5]
; %bb.57:
	v_bfe_u32 v1, v4, 16, 1
	s_movk_i32 s4, 0x7fff
	v_add3_u32 v1, v4, v1, s4
                                        ; implicit-def: $vgpr4
; %bb.58:
	s_andn2_saveexec_b64 s[4:5], s[2:3]
; %bb.59:
	v_mov_b32_e32 v1, 0
	v_or_b32_e32 v5, 0x10000, v4
	v_cmp_eq_u32_sdwa s[2:3], v4, v1 src0_sel:WORD_0 src1_sel:DWORD
	v_cndmask_b32_e64 v1, v5, v4, s[2:3]
; %bb.60:
	s_or_b64 exec, exec, s[4:5]
	v_sub_f32_e32 v2, v2, v6
	v_mul_f32_e32 v4, s12, v2
	s_mov_b32 s2, 0x7f800000
	v_and_b32_e32 v2, 0x7f800000, v4
	v_cmp_ne_u32_e64 s[2:3], s2, v2
                                        ; implicit-def: $vgpr2
	s_and_saveexec_b64 s[4:5], s[2:3]
	s_xor_b64 s[2:3], exec, s[4:5]
; %bb.61:
	v_bfe_u32 v2, v4, 16, 1
	s_movk_i32 s4, 0x7fff
	v_add3_u32 v2, v4, v2, s4
                                        ; implicit-def: $vgpr4
; %bb.62:
	s_andn2_saveexec_b64 s[4:5], s[2:3]
; %bb.63:
	v_mov_b32_e32 v2, 0
	v_or_b32_e32 v5, 0x10000, v4
	v_cmp_eq_u32_sdwa s[2:3], v4, v2 src0_sel:WORD_0 src1_sel:DWORD
	v_cndmask_b32_e64 v2, v5, v4, s[2:3]
; %bb.64:
	s_or_b64 exec, exec, s[4:5]
	v_sub_f32_e32 v3, v3, v7
	v_mul_f32_e32 v4, s12, v3
	s_mov_b32 s2, 0x7f800000
	v_and_b32_e32 v3, 0x7f800000, v4
	v_cmp_ne_u32_e64 s[2:3], s2, v3
                                        ; implicit-def: $vgpr3
	s_and_saveexec_b64 s[4:5], s[2:3]
	s_xor_b64 s[2:3], exec, s[4:5]
; %bb.65:
	v_bfe_u32 v3, v4, 16, 1
	s_movk_i32 s4, 0x7fff
	v_add3_u32 v3, v4, v3, s4
                                        ; implicit-def: $vgpr4
; %bb.66:
	s_andn2_saveexec_b64 s[4:5], s[2:3]
; %bb.67:
	v_mov_b32_e32 v3, 0
	v_or_b32_e32 v5, 0x10000, v4
	v_cmp_eq_u32_sdwa s[2:3], v4, v3 src0_sel:WORD_0 src1_sel:DWORD
	v_cndmask_b32_e64 v3, v5, v4, s[2:3]
; %bb.68:
	s_or_b64 exec, exec, s[4:5]
	s_mul_i32 s2, s14, s7
	s_mul_hi_u32 s3, s14, s6
	s_add_i32 s2, s3, s2
	s_mul_i32 s3, s15, s6
	s_add_i32 s3, s2, s3
	s_mul_i32 s2, s14, s6
	s_lshl_b64 s[2:3], s[2:3], 1
	s_add_u32 s2, s18, s2
	s_addc_u32 s3, s19, s3
	s_and_saveexec_b64 s[4:5], vcc
	s_cbranch_execnz .LBB35_71
; %bb.69:
	s_or_b64 exec, exec, s[4:5]
	s_and_saveexec_b64 s[4:5], s[0:1]
	s_cbranch_execnz .LBB35_72
.LBB35_70:
	s_endpgm
.LBB35_71:
	s_mov_b32 s6, 0x7060302
	v_perm_b32 v7, v25, v24, s6
	v_perm_b32 v6, v23, v22, s6
	;; [unrolled: 1-line block ×4, first 2 shown]
	global_store_dwordx4 v18, v[4:7], s[2:3]
	s_or_b64 exec, exec, s[4:5]
	s_and_saveexec_b64 s[4:5], s[0:1]
	s_cbranch_execz .LBB35_70
.LBB35_72:
	s_mov_b32 s0, 0x7060302
	v_perm_b32 v3, v3, v2, s0
	v_perm_b32 v2, v1, v0, s0
	;; [unrolled: 1-line block ×4, first 2 shown]
	global_store_dwordx4 v19, v[0:3], s[2:3]
	s_endpgm
	.section	.rodata,"a",@progbits
	.p2align	6, 0x0
	.amdhsa_kernel _Z30fast_hadamard_transform_kernelI37fast_hadamard_transform_kernel_traitsILi256ELi12E14__hip_bfloat16EEv18HadamardParamsBase
		.amdhsa_group_segment_fixed_size 0
		.amdhsa_private_segment_fixed_size 0
		.amdhsa_kernarg_size 312
		.amdhsa_user_sgpr_count 6
		.amdhsa_user_sgpr_private_segment_buffer 1
		.amdhsa_user_sgpr_dispatch_ptr 0
		.amdhsa_user_sgpr_queue_ptr 0
		.amdhsa_user_sgpr_kernarg_segment_ptr 1
		.amdhsa_user_sgpr_dispatch_id 0
		.amdhsa_user_sgpr_flat_scratch_init 0
		.amdhsa_user_sgpr_kernarg_preload_length 0
		.amdhsa_user_sgpr_kernarg_preload_offset 0
		.amdhsa_user_sgpr_private_segment_size 0
		.amdhsa_uses_dynamic_stack 0
		.amdhsa_system_sgpr_private_segment_wavefront_offset 0
		.amdhsa_system_sgpr_workgroup_id_x 1
		.amdhsa_system_sgpr_workgroup_id_y 0
		.amdhsa_system_sgpr_workgroup_id_z 0
		.amdhsa_system_sgpr_workgroup_info 0
		.amdhsa_system_vgpr_workitem_id 0
		.amdhsa_next_free_vgpr 43
		.amdhsa_next_free_sgpr 20
		.amdhsa_accum_offset 44
		.amdhsa_reserve_vcc 1
		.amdhsa_reserve_flat_scratch 0
		.amdhsa_float_round_mode_32 0
		.amdhsa_float_round_mode_16_64 0
		.amdhsa_float_denorm_mode_32 3
		.amdhsa_float_denorm_mode_16_64 3
		.amdhsa_dx10_clamp 1
		.amdhsa_ieee_mode 1
		.amdhsa_fp16_overflow 0
		.amdhsa_tg_split 0
		.amdhsa_exception_fp_ieee_invalid_op 0
		.amdhsa_exception_fp_denorm_src 0
		.amdhsa_exception_fp_ieee_div_zero 0
		.amdhsa_exception_fp_ieee_overflow 0
		.amdhsa_exception_fp_ieee_underflow 0
		.amdhsa_exception_fp_ieee_inexact 0
		.amdhsa_exception_int_div_zero 0
	.end_amdhsa_kernel
	.section	.text._Z30fast_hadamard_transform_kernelI37fast_hadamard_transform_kernel_traitsILi256ELi12E14__hip_bfloat16EEv18HadamardParamsBase,"axG",@progbits,_Z30fast_hadamard_transform_kernelI37fast_hadamard_transform_kernel_traitsILi256ELi12E14__hip_bfloat16EEv18HadamardParamsBase,comdat
.Lfunc_end35:
	.size	_Z30fast_hadamard_transform_kernelI37fast_hadamard_transform_kernel_traitsILi256ELi12E14__hip_bfloat16EEv18HadamardParamsBase, .Lfunc_end35-_Z30fast_hadamard_transform_kernelI37fast_hadamard_transform_kernel_traitsILi256ELi12E14__hip_bfloat16EEv18HadamardParamsBase
                                        ; -- End function
	.section	.AMDGPU.csdata,"",@progbits
; Kernel info:
; codeLenInByte = 5608
; NumSgprs: 24
; NumVgprs: 43
; NumAgprs: 0
; TotalNumVgprs: 43
; ScratchSize: 0
; MemoryBound: 0
; FloatMode: 240
; IeeeMode: 1
; LDSByteSize: 0 bytes/workgroup (compile time only)
; SGPRBlocks: 2
; VGPRBlocks: 5
; NumSGPRsForWavesPerEU: 24
; NumVGPRsForWavesPerEU: 43
; AccumOffset: 44
; Occupancy: 8
; WaveLimiterHint : 0
; COMPUTE_PGM_RSRC2:SCRATCH_EN: 0
; COMPUTE_PGM_RSRC2:USER_SGPR: 6
; COMPUTE_PGM_RSRC2:TRAP_HANDLER: 0
; COMPUTE_PGM_RSRC2:TGID_X_EN: 1
; COMPUTE_PGM_RSRC2:TGID_Y_EN: 0
; COMPUTE_PGM_RSRC2:TGID_Z_EN: 0
; COMPUTE_PGM_RSRC2:TIDIG_COMP_CNT: 0
; COMPUTE_PGM_RSRC3_GFX90A:ACCUM_OFFSET: 10
; COMPUTE_PGM_RSRC3_GFX90A:TG_SPLIT: 0
	.section	.text._Z30fast_hadamard_transform_kernelI37fast_hadamard_transform_kernel_traitsILi256ELi13E14__hip_bfloat16EEv18HadamardParamsBase,"axG",@progbits,_Z30fast_hadamard_transform_kernelI37fast_hadamard_transform_kernel_traitsILi256ELi13E14__hip_bfloat16EEv18HadamardParamsBase,comdat
	.protected	_Z30fast_hadamard_transform_kernelI37fast_hadamard_transform_kernel_traitsILi256ELi13E14__hip_bfloat16EEv18HadamardParamsBase ; -- Begin function _Z30fast_hadamard_transform_kernelI37fast_hadamard_transform_kernel_traitsILi256ELi13E14__hip_bfloat16EEv18HadamardParamsBase
	.globl	_Z30fast_hadamard_transform_kernelI37fast_hadamard_transform_kernel_traitsILi256ELi13E14__hip_bfloat16EEv18HadamardParamsBase
	.p2align	8
	.type	_Z30fast_hadamard_transform_kernelI37fast_hadamard_transform_kernel_traitsILi256ELi13E14__hip_bfloat16EEv18HadamardParamsBase,@function
_Z30fast_hadamard_transform_kernelI37fast_hadamard_transform_kernel_traitsILi256ELi13E14__hip_bfloat16EEv18HadamardParamsBase: ; @_Z30fast_hadamard_transform_kernelI37fast_hadamard_transform_kernel_traitsILi256ELi13E14__hip_bfloat16EEv18HadamardParamsBase
; %bb.0:
	s_load_dwordx4 s[16:19], s[4:5], 0x10
	s_load_dword s12, s[4:5], 0x4
	s_ashr_i32 s7, s6, 31
	s_load_dwordx4 s[20:23], s[4:5], 0x28
	s_load_dword s2, s[4:5], 0x44
	s_waitcnt lgkmcnt(0)
	s_mul_hi_u32 s0, s16, s6
	s_mul_i32 s1, s16, s7
	s_add_i32 s0, s0, s1
	s_mul_i32 s1, s17, s6
	s_add_i32 s1, s0, s1
	s_mul_i32 s0, s16, s6
	s_lshl_b64 s[0:1], s[0:1], 1
	s_add_u32 s8, s20, s0
	v_lshlrev_b32_e32 v1, 3, v0
	s_addc_u32 s9, s21, s1
	v_cmp_gt_u32_e32 vcc, s12, v1
	v_mov_b32_e32 v2, 0
	v_lshlrev_b32_e32 v34, 4, v0
	v_mov_b32_e32 v4, 0
	v_mov_b32_e32 v5, 0
	;; [unrolled: 1-line block ×8, first 2 shown]
	s_and_saveexec_b64 s[0:1], vcc
	s_cbranch_execz .LBB36_2
; %bb.1:
	global_load_dwordx4 v[10:13], v34, s[8:9]
	s_waitcnt vmcnt(0)
	v_lshlrev_b32_e32 v4, 16, v10
	v_lshlrev_b32_e32 v5, 16, v12
	v_and_b32_e32 v6, 0xffff0000, v10
	v_and_b32_e32 v7, 0xffff0000, v12
	v_lshlrev_b32_e32 v8, 16, v11
	v_lshlrev_b32_e32 v9, 16, v13
	v_and_b32_e32 v10, 0xffff0000, v11
	v_and_b32_e32 v11, 0xffff0000, v13
.LBB36_2:
	s_or_b64 exec, exec, s[0:1]
	s_and_b32 s13, 0xffff, s2
	v_add_u32_e32 v1, s13, v0
	v_lshlrev_b32_e32 v3, 3, v1
	v_cmp_gt_u32_e64 s[0:1], s12, v3
	v_lshlrev_b32_e32 v35, 4, v1
	v_mov_b32_e32 v3, 0
	v_mov_b32_e32 v12, 0
	;; [unrolled: 1-line block ×7, first 2 shown]
	s_and_saveexec_b64 s[2:3], s[0:1]
	s_cbranch_execz .LBB36_4
; %bb.3:
	global_load_dwordx4 v[16:19], v35, s[8:9]
	s_waitcnt vmcnt(0)
	v_lshlrev_b32_e32 v2, 16, v16
	v_lshlrev_b32_e32 v3, 16, v18
	v_and_b32_e32 v12, 0xffff0000, v16
	v_and_b32_e32 v13, 0xffff0000, v18
	v_lshlrev_b32_e32 v14, 16, v17
	v_lshlrev_b32_e32 v15, 16, v19
	v_and_b32_e32 v16, 0xffff0000, v17
	v_and_b32_e32 v17, 0xffff0000, v19
.LBB36_4:
	s_or_b64 exec, exec, s[2:3]
	v_add_u32_e32 v1, s13, v1
	v_lshlrev_b32_e32 v18, 3, v1
	v_cmp_gt_u32_e64 s[2:3], s12, v18
	v_mov_b32_e32 v19, 0
	v_lshlrev_b32_e32 v36, 4, v1
	v_mov_b32_e32 v20, 0
	v_mov_b32_e32 v21, 0
	;; [unrolled: 1-line block ×8, first 2 shown]
	s_and_saveexec_b64 s[10:11], s[2:3]
	s_cbranch_execz .LBB36_6
; %bb.5:
	global_load_dwordx4 v[26:29], v36, s[8:9]
	s_waitcnt vmcnt(0)
	v_lshlrev_b32_e32 v20, 16, v26
	v_lshlrev_b32_e32 v21, 16, v28
	v_and_b32_e32 v22, 0xffff0000, v26
	v_and_b32_e32 v23, 0xffff0000, v28
	v_lshlrev_b32_e32 v24, 16, v27
	v_lshlrev_b32_e32 v25, 16, v29
	v_and_b32_e32 v26, 0xffff0000, v27
	v_and_b32_e32 v27, 0xffff0000, v29
.LBB36_6:
	s_or_b64 exec, exec, s[10:11]
	s_load_dword s20, s[4:5], 0x20
	v_add_u32_e32 v1, s13, v1
	v_lshlrev_b32_e32 v18, 3, v1
	v_cmp_gt_u32_e64 s[4:5], s12, v18
	v_lshlrev_b32_e32 v37, 4, v1
	v_mov_b32_e32 v29, 0
	v_mov_b32_e32 v33, 0
	;; [unrolled: 1-line block ×7, first 2 shown]
	s_and_saveexec_b64 s[10:11], s[4:5]
	s_cbranch_execz .LBB36_8
; %bb.7:
	global_load_dwordx4 v[38:41], v37, s[8:9]
	s_waitcnt vmcnt(0)
	v_and_b32_e32 v30, 0xffff0000, v38
	v_lshlrev_b32_e32 v32, 16, v38
	v_and_b32_e32 v28, 0xffff0000, v39
	v_lshlrev_b32_e32 v18, 16, v39
	;; [unrolled: 2-line block ×4, first 2 shown]
.LBB36_8:
	s_or_b64 exec, exec, s[10:11]
	v_pk_add_f32 v[38:39], v[4:5], v[6:7]
	v_pk_add_f32 v[40:41], v[8:9], v[10:11]
	v_pk_add_f32 v[4:5], v[4:5], v[6:7] neg_lo:[0,1] neg_hi:[0,1]
	v_pk_add_f32 v[6:7], v[8:9], v[10:11] neg_lo:[0,1] neg_hi:[0,1]
	v_pk_add_f32 v[42:43], v[38:39], v[40:41]
	v_pk_add_f32 v[38:39], v[38:39], v[40:41] neg_lo:[0,1] neg_hi:[0,1]
	v_pk_add_f32 v[40:41], v[2:3], v[12:13]
	v_pk_add_f32 v[8:9], v[4:5], v[6:7]
	v_pk_add_f32 v[4:5], v[4:5], v[6:7] neg_lo:[0,1] neg_hi:[0,1]
	v_pk_add_f32 v[2:3], v[2:3], v[12:13] neg_lo:[0,1] neg_hi:[0,1]
	;; [unrolled: 1-line block ×3, first 2 shown]
	v_pk_add_f32 v[44:45], v[14:15], v[16:17]
	v_pk_add_f32 v[10:11], v[2:3], v[6:7]
	v_pk_add_f32 v[2:3], v[2:3], v[6:7] neg_lo:[0,1] neg_hi:[0,1]
	v_pk_add_f32 v[6:7], v[20:21], v[22:23] neg_lo:[0,1] neg_hi:[0,1]
	;; [unrolled: 1-line block ×3, first 2 shown]
	v_pk_add_f32 v[46:47], v[40:41], v[44:45]
	v_pk_add_f32 v[40:41], v[40:41], v[44:45] neg_lo:[0,1] neg_hi:[0,1]
	v_pk_add_f32 v[44:45], v[20:21], v[22:23]
	v_pk_add_f32 v[14:15], v[6:7], v[12:13]
	v_pk_add_f32 v[6:7], v[6:7], v[12:13] neg_lo:[0,1] neg_hi:[0,1]
	v_pk_add_f32 v[12:13], v[32:33], v[30:31] neg_lo:[0,1] neg_hi:[0,1]
	;; [unrolled: 1-line block ×3, first 2 shown]
	v_pk_add_f32 v[20:21], v[32:33], v[30:31]
	v_pk_add_f32 v[18:19], v[18:19], v[28:29]
	;; [unrolled: 1-line block ×3, first 2 shown]
	v_pk_add_f32 v[18:19], v[20:21], v[18:19] neg_lo:[0,1] neg_hi:[0,1]
	v_pk_add_f32 v[20:21], v[12:13], v[16:17]
	v_pk_add_f32 v[12:13], v[12:13], v[16:17] neg_lo:[0,1] neg_hi:[0,1]
	v_mov_b32_e32 v16, v43
	v_pk_add_f32 v[48:49], v[24:25], v[26:27]
	v_pk_add_f32 v[24:25], v[42:43], v[16:17]
	v_pk_add_f32 v[16:17], v[42:43], v[16:17] neg_lo:[0,1] neg_hi:[0,1]
	v_mov_b32_e32 v26, v47
	v_mov_b32_e32 v42, v23
	v_pk_add_f32 v[50:51], v[44:45], v[48:49]
	v_pk_add_f32 v[28:29], v[46:47], v[26:27]
	v_pk_add_f32 v[26:27], v[46:47], v[26:27] neg_lo:[0,1] neg_hi:[0,1]
	v_pk_add_f32 v[46:47], v[22:23], v[42:43]
	v_pk_add_f32 v[22:23], v[22:23], v[42:43] neg_lo:[0,1] neg_hi:[0,1]
	v_mov_b32_e32 v42, v9
	v_pk_add_f32 v[44:45], v[44:45], v[48:49] neg_lo:[0,1] neg_hi:[0,1]
	v_mov_b32_e32 v30, v51
	v_pk_add_f32 v[48:49], v[8:9], v[42:43]
	v_pk_add_f32 v[8:9], v[8:9], v[42:43] neg_lo:[0,1] neg_hi:[0,1]
	v_mov_b32_e32 v42, v11
	v_pk_add_f32 v[32:33], v[50:51], v[30:31]
	v_pk_add_f32 v[30:31], v[50:51], v[30:31] neg_lo:[0,1] neg_hi:[0,1]
	v_pk_add_f32 v[50:51], v[10:11], v[42:43]
	v_pk_add_f32 v[10:11], v[10:11], v[42:43] neg_lo:[0,1] neg_hi:[0,1]
	v_mov_b32_e32 v42, v15
	v_pk_add_f32 v[52:53], v[14:15], v[42:43]
	v_pk_add_f32 v[14:15], v[14:15], v[42:43] neg_lo:[0,1] neg_hi:[0,1]
	v_mov_b32_e32 v42, v21
	;; [unrolled: 3-line block ×7, first 2 shown]
	v_and_b32_e32 v1, 1, v0
	v_pk_add_f32 v[64:65], v[4:5], v[44:45]
	v_pk_add_f32 v[4:5], v[4:5], v[44:45] neg_lo:[0,1] neg_hi:[0,1]
	v_mov_b32_e32 v44, v3
	v_cmp_eq_u32_e64 s[16:17], 0, v1
	v_mbcnt_lo_u32_b32 v1, -1, 0
	v_pk_add_f32 v[66:67], v[2:3], v[44:45]
	v_pk_add_f32 v[2:3], v[2:3], v[44:45] neg_lo:[0,1] neg_hi:[0,1]
	v_mov_b32_e32 v44, v7
	v_mbcnt_hi_u32_b32 v1, -1, v1
	v_pk_add_f32 v[68:69], v[6:7], v[44:45]
	v_pk_add_f32 v[44:45], v[6:7], v[44:45] neg_lo:[0,1] neg_hi:[0,1]
	v_mov_b32_e32 v6, v13
	v_and_b32_e32 v3, 64, v1
	v_pk_add_f32 v[70:71], v[12:13], v[6:7]
	v_pk_add_f32 v[12:13], v[12:13], v[6:7] neg_lo:[0,1] neg_hi:[0,1]
	v_add_u32_e32 v6, 64, v3
	v_xor_b32_e32 v3, 1, v1
	v_cmp_lt_i32_e64 s[8:9], v3, v6
	v_cndmask_b32_e64 v3, v1, v3, s[8:9]
	v_lshlrev_b32_e32 v23, 2, v3
	ds_bpermute_b32 v3, v23, v24
	v_cndmask_b32_e64 v5, -v24, v24, s[16:17]
	v_cndmask_b32_e64 v7, -v48, v48, s[16:17]
	;; [unrolled: 1-line block ×4, first 2 shown]
	s_waitcnt lgkmcnt(0)
	v_add_f32_e32 v3, v5, v3
	ds_bpermute_b32 v5, v23, v48
	v_cndmask_b32_e64 v13, -v16, v16, s[16:17]
	v_cndmask_b32_e64 v15, -v38, v38, s[16:17]
	;; [unrolled: 1-line block ×4, first 2 shown]
	s_waitcnt lgkmcnt(0)
	v_add_f32_e32 v5, v7, v5
	ds_bpermute_b32 v7, v23, v56
	v_cndmask_b32_e64 v21, -v66, v66, s[16:17]
	v_cndmask_b32_e64 v24, -v26, v26, s[16:17]
	;; [unrolled: 1-line block ×3, first 2 shown]
	ds_bpermute_b32 v27, v23, v52
	s_waitcnt lgkmcnt(1)
	v_add_f32_e32 v7, v9, v7
	ds_bpermute_b32 v9, v23, v64
	v_cndmask_b32_e64 v29, -v60, v60, s[16:17]
	v_cndmask_b32_e64 v31, -v68, v68, s[16:17]
	;; [unrolled: 1-line block ×4, first 2 shown]
	s_waitcnt lgkmcnt(0)
	v_add_f32_e32 v9, v11, v9
	ds_bpermute_b32 v11, v23, v16
	v_cndmask_b32_e64 v16, -v28, v28, s[16:17]
	v_cndmask_b32_e64 v41, -v70, v70, s[16:17]
	s_waitcnt lgkmcnt(0)
	s_barrier
	v_add_f32_e32 v11, v13, v11
	ds_bpermute_b32 v13, v23, v8
	v_cndmask_b32_e64 v8, -v8, v8, s[16:17]
	s_waitcnt lgkmcnt(0)
	v_add_f32_e32 v8, v8, v13
	ds_bpermute_b32 v13, v23, v38
	v_cndmask_b32_e64 v38, -v46, v46, s[16:17]
	s_waitcnt lgkmcnt(0)
	;; [unrolled: 4-line block ×3, first 2 shown]
	v_add_f32_e32 v4, v4, v15
	ds_bpermute_b32 v15, v23, v28
	v_cndmask_b32_e64 v28, -v52, v52, s[16:17]
	v_add_f32_e32 v27, v28, v27
	ds_bpermute_b32 v28, v23, v68
	s_waitcnt lgkmcnt(1)
	v_add_f32_e32 v15, v16, v15
	ds_bpermute_b32 v16, v23, v50
	s_waitcnt lgkmcnt(1)
	v_add_f32_e32 v28, v31, v28
	ds_bpermute_b32 v31, v23, v14
	v_cndmask_b32_e64 v14, -v14, v14, s[16:17]
	s_waitcnt lgkmcnt(1)
	v_add_f32_e32 v16, v17, v16
	ds_bpermute_b32 v17, v23, v58
	s_waitcnt lgkmcnt(1)
	v_add_f32_e32 v14, v14, v31
	ds_bpermute_b32 v31, v23, v44
	s_waitcnt lgkmcnt(1)
	v_add_f32_e32 v17, v19, v17
	ds_bpermute_b32 v19, v23, v66
	s_waitcnt lgkmcnt(1)
	v_add_f32_e32 v31, v33, v31
	ds_bpermute_b32 v33, v23, v54
	s_waitcnt lgkmcnt(1)
	v_add_f32_e32 v19, v21, v19
	ds_bpermute_b32 v21, v23, v26
	v_cndmask_b32_e64 v26, -v32, v32, s[16:17]
	s_waitcnt lgkmcnt(1)
	v_add_f32_e32 v33, v39, v33
	ds_bpermute_b32 v39, v23, v70
	s_waitcnt lgkmcnt(1)
	v_add_f32_e32 v21, v24, v21
	ds_bpermute_b32 v24, v23, v10
	v_cndmask_b32_e64 v10, -v10, v10, s[16:17]
	s_waitcnt lgkmcnt(1)
	v_add_f32_e32 v39, v41, v39
	ds_bpermute_b32 v41, v23, v20
	v_cndmask_b32_e64 v20, -v20, v20, s[16:17]
	;; [unrolled: 4-line block ×3, first 2 shown]
	s_waitcnt lgkmcnt(1)
	v_add_f32_e32 v20, v20, v41
	s_waitcnt lgkmcnt(0)
	v_add_f32_e32 v24, v25, v24
	ds_bpermute_b32 v25, v23, v2
	v_cndmask_b32_e64 v2, -v2, v2, s[16:17]
	s_waitcnt lgkmcnt(0)
	v_add_f32_e32 v2, v2, v25
	ds_bpermute_b32 v25, v23, v32
	v_cndmask_b32_e64 v32, -v42, v42, s[16:17]
	s_waitcnt lgkmcnt(0)
	v_add_f32_e32 v25, v26, v25
	ds_bpermute_b32 v26, v23, v60
	s_waitcnt lgkmcnt(0)
	v_add_f32_e32 v26, v29, v26
	ds_bpermute_b32 v29, v23, v30
	v_cndmask_b32_e64 v30, -v30, v30, s[16:17]
	s_waitcnt lgkmcnt(0)
	v_add_f32_e32 v29, v30, v29
	ds_bpermute_b32 v30, v23, v42
	ds_bpermute_b32 v42, v23, v12
	v_cndmask_b32_e64 v12, -v12, v12, s[16:17]
	s_waitcnt lgkmcnt(1)
	v_add_f32_e32 v30, v32, v30
	ds_bpermute_b32 v32, v23, v46
	s_waitcnt lgkmcnt(1)
	v_add_f32_e32 v12, v12, v42
	v_and_b32_e32 v42, 2, v0
	s_waitcnt lgkmcnt(0)
	v_add_f32_e32 v32, v38, v32
	ds_bpermute_b32 v38, v23, v62
	s_waitcnt lgkmcnt(0)
	v_add_f32_e32 v38, v40, v38
	ds_bpermute_b32 v40, v23, v22
	v_cndmask_b32_e64 v22, -v22, v22, s[16:17]
	s_waitcnt lgkmcnt(0)
	v_add_f32_e32 v40, v22, v40
	ds_bpermute_b32 v22, v23, v18
	v_cndmask_b32_e64 v18, -v18, v18, s[16:17]
	s_waitcnt lgkmcnt(0)
	v_add_f32_e32 v18, v18, v22
	v_xor_b32_e32 v22, 2, v1
	v_cmp_lt_i32_e64 s[8:9], v22, v6
	v_cndmask_b32_e64 v22, v1, v22, s[8:9]
	v_lshlrev_b32_e32 v22, 2, v22
	ds_bpermute_b32 v41, v22, v3
	v_cmp_eq_u32_e64 s[8:9], 0, v42
	v_cndmask_b32_e64 v3, -v3, v3, s[8:9]
	ds_bpermute_b32 v42, v22, v9
	v_cndmask_b32_e64 v9, -v9, v9, s[8:9]
	s_waitcnt lgkmcnt(1)
	v_add_f32_e32 v3, v3, v41
	ds_bpermute_b32 v41, v22, v7
	v_cndmask_b32_e64 v7, -v7, v7, s[8:9]
	s_waitcnt lgkmcnt(1)
	v_add_f32_e32 v9, v9, v42
	;; [unrolled: 4-line block ×24, first 2 shown]
	ds_bpermute_b32 v42, v22, v39
	ds_bpermute_b32 v43, v22, v5
	s_waitcnt lgkmcnt(2)
	v_add_f32_e32 v32, v32, v41
	ds_bpermute_b32 v41, v22, v38
	v_cndmask_b32_e64 v38, -v38, v38, s[8:9]
	v_cndmask_b32_e64 v39, -v39, v39, s[8:9]
	s_waitcnt lgkmcnt(2)
	v_add_f32_e32 v39, v39, v42
	ds_bpermute_b32 v42, v22, v20
	s_waitcnt lgkmcnt(1)
	v_add_f32_e32 v38, v38, v41
	ds_bpermute_b32 v41, v22, v40
	v_cndmask_b32_e64 v40, -v40, v40, s[8:9]
	v_cndmask_b32_e64 v5, -v5, v5, s[8:9]
	v_add_f32_e32 v5, v5, v43
	ds_bpermute_b32 v43, v22, v12
	s_waitcnt lgkmcnt(1)
	v_add_f32_e32 v40, v40, v41
	ds_bpermute_b32 v41, v22, v18
	v_cndmask_b32_e64 v18, -v18, v18, s[8:9]
	v_cndmask_b32_e64 v20, -v20, v20, s[8:9]
	v_add_f32_e32 v20, v20, v42
	v_cndmask_b32_e64 v12, -v12, v12, s[8:9]
	s_waitcnt lgkmcnt(0)
	v_add_f32_e32 v18, v18, v41
	v_xor_b32_e32 v41, 4, v1
	v_cmp_lt_i32_e64 s[10:11], v41, v6
	v_cndmask_b32_e64 v41, v1, v41, s[10:11]
	v_lshlrev_b32_e32 v41, 2, v41
	ds_bpermute_b32 v42, v41, v3
	v_add_f32_e32 v12, v12, v43
	v_and_b32_e32 v43, 4, v0
	v_cmp_eq_u32_e64 s[10:11], 0, v43
	v_cndmask_b32_e64 v3, -v3, v3, s[10:11]
	s_waitcnt lgkmcnt(0)
	v_add_f32_e32 v3, v3, v42
	ds_bpermute_b32 v42, v41, v7
	ds_bpermute_b32 v43, v41, v9
	v_cndmask_b32_e64 v7, -v7, v7, s[10:11]
	v_cndmask_b32_e64 v9, -v9, v9, s[10:11]
	ds_bpermute_b32 v44, v41, v5
	s_waitcnt lgkmcnt(2)
	v_add_f32_e32 v7, v7, v42
	ds_bpermute_b32 v42, v41, v11
	s_waitcnt lgkmcnt(2)
	v_add_f32_e32 v43, v9, v43
	ds_bpermute_b32 v9, v41, v8
	v_cndmask_b32_e64 v11, -v11, v11, s[10:11]
	v_cndmask_b32_e64 v5, -v5, v5, s[10:11]
	s_waitcnt lgkmcnt(1)
	v_add_f32_e32 v42, v11, v42
	ds_bpermute_b32 v11, v41, v13
	v_cndmask_b32_e64 v8, -v8, v8, s[10:11]
	v_add_f32_e32 v5, v5, v44
	s_waitcnt lgkmcnt(1)
	v_add_f32_e32 v44, v8, v9
	ds_bpermute_b32 v8, v41, v4
	v_cndmask_b32_e64 v9, -v13, v13, s[10:11]
	s_waitcnt lgkmcnt(1)
	v_add_f32_e32 v45, v9, v11
	ds_bpermute_b32 v9, v41, v15
	v_cndmask_b32_e64 v4, -v4, v4, s[10:11]
	;; [unrolled: 4-line block ×22, first 2 shown]
	s_waitcnt lgkmcnt(1)
	v_add_f32_e32 v61, v9, v2
	v_cndmask_b32_e64 v2, -v40, v40, s[10:11]
	ds_bpermute_b32 v9, v41, v20
	s_waitcnt lgkmcnt(1)
	v_add_f32_e32 v62, v2, v8
	ds_bpermute_b32 v2, v41, v18
	v_cndmask_b32_e64 v8, -v20, v20, s[10:11]
	ds_bpermute_b32 v10, v41, v12
	s_waitcnt lgkmcnt(2)
	v_add_f32_e32 v63, v8, v9
	v_cndmask_b32_e64 v8, -v18, v18, s[10:11]
	s_waitcnt lgkmcnt(1)
	v_add_f32_e32 v64, v8, v2
	v_xor_b32_e32 v8, 8, v1
	v_cndmask_b32_e64 v2, -v12, v12, s[10:11]
	v_cmp_lt_i32_e64 s[10:11], v8, v6
	v_cndmask_b32_e64 v8, v1, v8, s[10:11]
	v_lshlrev_b32_e32 v66, 2, v8
	ds_bpermute_b32 v8, v66, v3
	ds_bpermute_b32 v9, v66, v5
	s_waitcnt lgkmcnt(2)
	v_add_f32_e32 v65, v2, v10
	v_and_b32_e32 v2, 8, v0
	v_xor_b32_e32 v20, 16, v1
	v_cmp_eq_u32_e64 s[14:15], 0, v2
	v_cmp_lt_i32_e64 s[10:11], v20, v6
	v_cndmask_b32_e64 v10, -v3, v3, s[14:15]
	v_cndmask_b32_e64 v11, -v5, v5, s[14:15]
	v_cndmask_b32_e64 v20, v1, v20, s[10:11]
	v_lshlrev_b32_e32 v24, 2, v20
	s_waitcnt lgkmcnt(0)
	v_pk_add_f32 v[8:9], v[10:11], v[8:9]
	ds_bpermute_b32 v12, v66, v7
	ds_bpermute_b32 v13, v66, v43
	ds_bpermute_b32 v10, v24, v8
	ds_bpermute_b32 v11, v24, v9
	v_cndmask_b32_e64 v18, -v7, v7, s[14:15]
	v_and_b32_e32 v7, 16, v0
	v_cmp_eq_u32_e64 s[10:11], 0, v7
	v_xor_b32_e32 v7, 32, v1
	v_cndmask_b32_e64 v19, -v43, v43, s[14:15]
	v_cndmask_b32_e64 v9, -v9, v9, s[10:11]
	;; [unrolled: 1-line block ×3, first 2 shown]
	v_cmp_lt_i32_e64 s[12:13], v7, v6
	v_cndmask_b32_e64 v1, v1, v7, s[12:13]
	s_waitcnt lgkmcnt(0)
	v_pk_add_f32 v[6:7], v[8:9], v[10:11]
	v_pk_add_f32 v[10:11], v[18:19], v[12:13]
	ds_bpermute_b32 v12, v24, v10
	ds_bpermute_b32 v13, v24, v11
	v_cndmask_b32_e64 v11, -v11, v11, s[10:11]
	v_cndmask_b32_e64 v10, -v10, v10, s[10:11]
	v_lshlrev_b32_e32 v1, 2, v1
	ds_bpermute_b32 v8, v1, v6
	s_waitcnt lgkmcnt(1)
	v_pk_add_f32 v[10:11], v[10:11], v[12:13]
	ds_bpermute_b32 v9, v1, v7
	ds_bpermute_b32 v12, v1, v10
	;; [unrolled: 1-line block ×3, first 2 shown]
	v_and_b32_e32 v20, 32, v0
	ds_bpermute_b32 v26, v66, v42
	ds_bpermute_b32 v27, v66, v44
	;; [unrolled: 1-line block ×4, first 2 shown]
	v_cmp_eq_u32_e64 s[12:13], 0, v20
	ds_bpermute_b32 v14, v66, v15
	v_cndmask_b32_e64 v16, -v15, v15, s[14:15]
	ds_bpermute_b32 v15, v66, v46
	ds_bpermute_b32 v2, v66, v47
	;; [unrolled: 1-line block ×3, first 2 shown]
	v_cndmask_b32_e64 v7, -v7, v7, s[12:13]
	v_cndmask_b32_e64 v6, -v6, v6, s[12:13]
	;; [unrolled: 1-line block ×4, first 2 shown]
	s_waitcnt lgkmcnt(10)
	v_pk_add_f32 v[6:7], v[6:7], v[8:9]
	s_waitcnt lgkmcnt(8)
	v_pk_add_f32 v[8:9], v[10:11], v[12:13]
	v_lshrrev_b32_e32 v10, 6, v0
	v_xor_b32_e32 v10, v10, v0
	v_cndmask_b32_e64 v28, -v42, v42, s[14:15]
	v_cndmask_b32_e64 v29, -v44, v44, s[14:15]
	;; [unrolled: 1-line block ×4, first 2 shown]
	v_lshl_add_u32 v32, v10, 4, 0
	v_cndmask_b32_e64 v17, -v46, v46, s[14:15]
	v_cndmask_b32_e64 v4, -v47, v47, s[14:15]
	;; [unrolled: 1-line block ×3, first 2 shown]
	ds_write_b128 v32, v[6:9]
	s_waitcnt lgkmcnt(7)
	v_pk_add_f32 v[6:7], v[28:29], v[26:27]
	s_waitcnt lgkmcnt(5)
	v_pk_add_f32 v[10:11], v[38:39], v[30:31]
	ds_bpermute_b32 v8, v24, v6
	ds_bpermute_b32 v9, v24, v7
	ds_bpermute_b32 v12, v24, v10
	ds_bpermute_b32 v13, v24, v11
	s_waitcnt lgkmcnt(7)
	v_pk_add_f32 v[14:15], v[16:17], v[14:15]
	s_waitcnt lgkmcnt(5)
	v_pk_add_f32 v[2:3], v[4:5], v[2:3]
	ds_bpermute_b32 v16, v24, v14
	ds_bpermute_b32 v17, v24, v15
	;; [unrolled: 1-line block ×6, first 2 shown]
	v_cndmask_b32_e64 v7, -v7, v7, s[10:11]
	v_cndmask_b32_e64 v6, -v6, v6, s[10:11]
	;; [unrolled: 1-line block ×4, first 2 shown]
	s_waitcnt lgkmcnt(8)
	v_pk_add_f32 v[6:7], v[6:7], v[8:9]
	s_waitcnt lgkmcnt(6)
	v_pk_add_f32 v[10:11], v[10:11], v[12:13]
	v_cndmask_b32_e64 v15, -v15, v15, s[10:11]
	v_cndmask_b32_e64 v14, -v14, v14, s[10:11]
	;; [unrolled: 1-line block ×4, first 2 shown]
	ds_bpermute_b32 v8, v1, v6
	ds_bpermute_b32 v9, v1, v7
	;; [unrolled: 1-line block ×4, first 2 shown]
	s_waitcnt lgkmcnt(8)
	v_pk_add_f32 v[14:15], v[14:15], v[16:17]
	s_waitcnt lgkmcnt(6)
	v_pk_add_f32 v[2:3], v[2:3], v[4:5]
	v_cndmask_b32_e64 v42, -v21, v21, s[14:15]
	v_cndmask_b32_e64 v43, -v49, v49, s[14:15]
	ds_bpermute_b32 v45, v66, v51
	v_cndmask_b32_e64 v47, -v51, v51, s[14:15]
	ds_bpermute_b32 v49, v66, v52
	;; [unrolled: 2-line block ×6, first 2 shown]
	ds_bpermute_b32 v27, v1, v15
	ds_bpermute_b32 v56, v1, v2
	;; [unrolled: 1-line block ×3, first 2 shown]
	s_waitcnt lgkmcnt(13)
	v_pk_add_f32 v[40:41], v[42:43], v[40:41]
	ds_bpermute_b32 v42, v24, v40
	ds_bpermute_b32 v43, v24, v41
	;; [unrolled: 1-line block ×3, first 2 shown]
	v_cndmask_b32_e64 v7, -v7, v7, s[12:13]
	v_cndmask_b32_e64 v6, -v6, v6, s[12:13]
	;; [unrolled: 1-line block ×4, first 2 shown]
	ds_bpermute_b32 v18, v66, v53
	v_cndmask_b32_e64 v20, -v53, v53, s[14:15]
	ds_bpermute_b32 v30, v66, v55
	v_cndmask_b32_e64 v38, -v55, v55, s[14:15]
	s_waitcnt lgkmcnt(14)
	v_pk_add_f32 v[8:9], v[6:7], v[8:9]
	v_pk_add_f32 v[10:11], v[10:11], v[12:13]
	ds_bpermute_b32 v53, v66, v58
	v_cndmask_b32_e64 v55, -v58, v58, s[14:15]
	ds_bpermute_b32 v6, v66, v59
	v_cndmask_b32_e64 v12, -v59, v59, s[14:15]
	v_cndmask_b32_e64 v29, -v15, v15, s[12:13]
	;; [unrolled: 1-line block ×5, first 2 shown]
	s_waitcnt lgkmcnt(9)
	v_pk_add_f32 v[26:27], v[28:29], v[26:27]
	s_waitcnt lgkmcnt(7)
	v_pk_add_f32 v[28:29], v[58:59], v[56:57]
	ds_write_b128 v32, v[26:29] offset:8192
	v_cndmask_b32_e64 v27, -v41, v41, s[10:11]
	v_cndmask_b32_e64 v26, -v40, v40, s[10:11]
	v_cndmask_b32_e64 v46, -v50, v50, s[14:15]
	s_waitcnt lgkmcnt(6)
	v_pk_add_f32 v[26:27], v[26:27], v[42:43]
	ds_bpermute_b32 v28, v1, v26
	ds_bpermute_b32 v29, v1, v27
	s_waitcnt lgkmcnt(7)
	v_pk_add_f32 v[40:41], v[46:47], v[44:45]
	ds_bpermute_b32 v42, v24, v40
	ds_bpermute_b32 v43, v24, v41
	;; [unrolled: 1-line block ×3, first 2 shown]
	v_cndmask_b32_e64 v27, -v27, v27, s[12:13]
	v_cndmask_b32_e64 v26, -v26, v26, s[12:13]
	s_waitcnt lgkmcnt(3)
	v_pk_add_f32 v[26:27], v[26:27], v[28:29]
	v_cndmask_b32_e64 v29, -v41, v41, s[10:11]
	v_cndmask_b32_e64 v28, -v40, v40, s[10:11]
	s_waitcnt lgkmcnt(1)
	v_pk_add_f32 v[28:29], v[28:29], v[42:43]
	v_cndmask_b32_e64 v50, -v25, v25, s[14:15]
	ds_bpermute_b32 v40, v1, v28
	ds_bpermute_b32 v41, v1, v29
	s_waitcnt lgkmcnt(2)
	v_pk_add_f32 v[42:43], v[50:51], v[48:49]
	ds_bpermute_b32 v44, v24, v42
	ds_bpermute_b32 v45, v24, v43
	;; [unrolled: 1-line block ×3, first 2 shown]
	v_cndmask_b32_e64 v29, -v29, v29, s[12:13]
	v_cndmask_b32_e64 v28, -v28, v28, s[12:13]
	s_waitcnt lgkmcnt(3)
	v_pk_add_f32 v[28:29], v[28:29], v[40:41]
	ds_write_b128 v32, v[26:29] offset:12288
	v_cndmask_b32_e64 v27, -v43, v43, s[10:11]
	v_cndmask_b32_e64 v26, -v42, v42, s[10:11]
	v_pk_add_f32 v[20:21], v[20:21], v[18:19]
	s_waitcnt lgkmcnt(2)
	v_pk_add_f32 v[26:27], v[26:27], v[44:45]
	ds_bpermute_b32 v40, v24, v20
	ds_bpermute_b32 v41, v24, v21
	v_cndmask_b32_e64 v13, -v33, v33, s[14:15]
	ds_write_b128 v32, v[8:11] offset:4096
	ds_bpermute_b32 v8, v66, v60
	ds_bpermute_b32 v9, v66, v61
	;; [unrolled: 1-line block ×4, first 2 shown]
	s_waitcnt lgkmcnt(8)
	v_pk_add_f32 v[6:7], v[12:13], v[6:7]
	ds_bpermute_b32 v12, v24, v6
	ds_bpermute_b32 v13, v24, v7
	v_cndmask_b32_e64 v21, -v21, v21, s[10:11]
	v_cndmask_b32_e64 v20, -v20, v20, s[10:11]
	;; [unrolled: 1-line block ×6, first 2 shown]
	s_waitcnt lgkmcnt(7)
	v_pk_add_f32 v[20:21], v[20:21], v[40:41]
	s_waitcnt lgkmcnt(2)
	v_pk_add_f32 v[18:19], v[26:27], v[28:29]
	ds_bpermute_b32 v26, v1, v20
	ds_bpermute_b32 v27, v1, v21
	v_pk_add_f32 v[8:9], v[10:11], v[8:9]
	v_pk_add_f32 v[28:29], v[38:39], v[30:31]
	v_cndmask_b32_e64 v7, -v7, v7, s[10:11]
	v_cndmask_b32_e64 v6, -v6, v6, s[10:11]
	ds_bpermute_b32 v10, v24, v8
	ds_bpermute_b32 v11, v24, v9
	;; [unrolled: 1-line block ×4, first 2 shown]
	s_waitcnt lgkmcnt(6)
	v_pk_add_f32 v[6:7], v[6:7], v[12:13]
	ds_bpermute_b32 v14, v66, v62
	ds_bpermute_b32 v15, v66, v63
	;; [unrolled: 1-line block ×6, first 2 shown]
	v_cndmask_b32_e64 v21, -v21, v21, s[12:13]
	v_cndmask_b32_e64 v20, -v20, v20, s[12:13]
	s_waitcnt lgkmcnt(10)
	v_pk_add_f32 v[20:21], v[20:21], v[26:27]
	v_cndmask_b32_e64 v9, -v9, v9, s[10:11]
	v_cndmask_b32_e64 v8, -v8, v8, s[10:11]
	ds_write_b128 v32, v[18:21] offset:16384
	v_cndmask_b32_e64 v19, -v29, v29, s[10:11]
	v_cndmask_b32_e64 v18, -v28, v28, s[10:11]
	s_waitcnt lgkmcnt(9)
	v_pk_add_f32 v[8:9], v[8:9], v[10:11]
	v_cndmask_b32_e64 v16, -v62, v62, s[14:15]
	v_cndmask_b32_e64 v17, -v63, v63, s[14:15]
	;; [unrolled: 1-line block ×4, first 2 shown]
	s_waitcnt lgkmcnt(7)
	v_pk_add_f32 v[18:19], v[18:19], v[30:31]
	v_cndmask_b32_e64 v7, -v7, v7, s[12:13]
	v_cndmask_b32_e64 v6, -v6, v6, s[12:13]
	ds_bpermute_b32 v10, v1, v8
	ds_bpermute_b32 v11, v1, v9
	;; [unrolled: 1-line block ×4, first 2 shown]
	v_pk_add_f32 v[26:27], v[54:55], v[52:53]
	s_waitcnt lgkmcnt(5)
	v_pk_add_f32 v[6:7], v[6:7], v[12:13]
	v_pk_add_f32 v[12:13], v[16:17], v[14:15]
	;; [unrolled: 1-line block ×3, first 2 shown]
	ds_bpermute_b32 v28, v24, v26
	ds_bpermute_b32 v29, v24, v27
	;; [unrolled: 1-line block ×6, first 2 shown]
	v_cndmask_b32_e64 v9, -v9, v9, s[12:13]
	v_cndmask_b32_e64 v8, -v8, v8, s[12:13]
	;; [unrolled: 1-line block ×4, first 2 shown]
	s_waitcnt lgkmcnt(8)
	v_pk_add_f32 v[8:9], v[8:9], v[10:11]
	s_waitcnt lgkmcnt(6)
	v_pk_add_f32 v[18:19], v[18:19], v[20:21]
	v_cndmask_b32_e64 v21, -v27, v27, s[10:11]
	v_cndmask_b32_e64 v20, -v26, v26, s[10:11]
	ds_write_b128 v32, v[6:9] offset:24576
	v_cndmask_b32_e64 v7, -v13, v13, s[10:11]
	v_cndmask_b32_e64 v6, -v12, v12, s[10:11]
	;; [unrolled: 1-line block ×4, first 2 shown]
	s_waitcnt lgkmcnt(5)
	v_pk_add_f32 v[20:21], v[20:21], v[28:29]
	s_waitcnt lgkmcnt(3)
	v_pk_add_f32 v[6:7], v[6:7], v[14:15]
	;; [unrolled: 2-line block ×3, first 2 shown]
	ds_bpermute_b32 v26, v1, v20
	ds_bpermute_b32 v27, v1, v21
	;; [unrolled: 1-line block ×6, first 2 shown]
	v_and_b32_e32 v25, 3, v0
	v_lshrrev_b32_e32 v0, 2, v0
	v_lshl_or_b32 v0, v25, 6, v0
	v_cndmask_b32_e64 v21, -v21, v21, s[12:13]
	v_cndmask_b32_e64 v20, -v20, v20, s[12:13]
	v_cndmask_b32_e64 v7, -v7, v7, s[12:13]
	v_cndmask_b32_e64 v6, -v6, v6, s[12:13]
	v_cndmask_b32_e64 v5, -v5, v5, s[12:13]
	v_cndmask_b32_e64 v4, -v4, v4, s[12:13]
	v_xor_b32_e32 v0, v0, v25
	s_waitcnt lgkmcnt(4)
	v_pk_add_f32 v[20:21], v[20:21], v[26:27]
	s_waitcnt lgkmcnt(2)
	v_pk_add_f32 v[2:3], v[6:7], v[8:9]
	;; [unrolled: 2-line block ×3, first 2 shown]
	v_lshl_add_u32 v33, v0, 4, 0
	ds_write_b128 v32, v[18:21] offset:20480
	ds_write_b128 v32, v[2:5] offset:28672
	s_waitcnt lgkmcnt(0)
	s_barrier
	ds_read_b128 v[12:15], v33
	ds_read_b128 v[16:19], v33 offset:4096
	ds_read_b128 v[24:27], v33 offset:8192
	;; [unrolled: 1-line block ×7, first 2 shown]
	s_waitcnt lgkmcnt(7)
	ds_bpermute_b32 v20, v23, v12
	ds_bpermute_b32 v21, v23, v13
	;; [unrolled: 1-line block ×4, first 2 shown]
	v_cndmask_b32_e64 v13, -v13, v13, s[16:17]
	v_cndmask_b32_e64 v12, -v12, v12, s[16:17]
	;; [unrolled: 1-line block ×4, first 2 shown]
	s_waitcnt lgkmcnt(0)
	v_pk_add_f32 v[14:15], v[14:15], v[42:43]
	v_pk_add_f32 v[12:13], v[12:13], v[20:21]
	ds_bpermute_b32 v20, v22, v12
	ds_bpermute_b32 v21, v22, v13
	;; [unrolled: 1-line block ×8, first 2 shown]
	v_cndmask_b32_e64 v13, -v13, v13, s[8:9]
	v_cndmask_b32_e64 v12, -v12, v12, s[8:9]
	;; [unrolled: 1-line block ×4, first 2 shown]
	s_waitcnt lgkmcnt(4)
	v_pk_add_f32 v[14:15], v[14:15], v[42:43]
	v_pk_add_f32 v[12:13], v[12:13], v[20:21]
	s_waitcnt lgkmcnt(0)
	s_barrier
	ds_write_b128 v33, v[12:15]
	v_cndmask_b32_e64 v13, -v17, v17, s[16:17]
	v_cndmask_b32_e64 v12, -v16, v16, s[16:17]
	;; [unrolled: 1-line block ×4, first 2 shown]
	v_pk_add_f32 v[14:15], v[14:15], v[46:47]
	v_pk_add_f32 v[12:13], v[12:13], v[44:45]
	ds_bpermute_b32 v18, v22, v12
	ds_bpermute_b32 v19, v22, v13
	ds_bpermute_b32 v44, v22, v14
	ds_bpermute_b32 v45, v22, v15
	ds_bpermute_b32 v48, v23, v24
	ds_bpermute_b32 v49, v23, v25
	ds_bpermute_b32 v50, v23, v26
	ds_bpermute_b32 v51, v23, v27
	v_cndmask_b32_e64 v13, -v13, v13, s[8:9]
	v_cndmask_b32_e64 v12, -v12, v12, s[8:9]
	v_cndmask_b32_e64 v15, -v15, v15, s[8:9]
	v_cndmask_b32_e64 v14, -v14, v14, s[8:9]
	s_waitcnt lgkmcnt(4)
	v_pk_add_f32 v[14:15], v[14:15], v[44:45]
	v_pk_add_f32 v[12:13], v[12:13], v[18:19]
	ds_write_b128 v33, v[12:15] offset:4096
	v_cndmask_b32_e64 v13, -v25, v25, s[16:17]
	v_cndmask_b32_e64 v12, -v24, v24, s[16:17]
	v_cndmask_b32_e64 v15, -v27, v27, s[16:17]
	v_cndmask_b32_e64 v14, -v26, v26, s[16:17]
	s_waitcnt lgkmcnt(1)
	v_pk_add_f32 v[14:15], v[14:15], v[50:51]
	v_pk_add_f32 v[12:13], v[12:13], v[48:49]
	ds_bpermute_b32 v48, v22, v12
	ds_bpermute_b32 v49, v22, v13
	ds_bpermute_b32 v50, v22, v14
	ds_bpermute_b32 v51, v22, v15
	ds_bpermute_b32 v52, v23, v28
	ds_bpermute_b32 v53, v23, v29
	ds_bpermute_b32 v54, v23, v30
	ds_bpermute_b32 v55, v23, v31
	v_cndmask_b32_e64 v13, -v13, v13, s[8:9]
	v_cndmask_b32_e64 v12, -v12, v12, s[8:9]
	v_cndmask_b32_e64 v15, -v15, v15, s[8:9]
	v_cndmask_b32_e64 v14, -v14, v14, s[8:9]
	s_waitcnt lgkmcnt(4)
	v_pk_add_f32 v[14:15], v[14:15], v[50:51]
	v_pk_add_f32 v[12:13], v[12:13], v[48:49]
	ds_write_b128 v33, v[12:15] offset:8192
	v_cndmask_b32_e64 v13, -v29, v29, s[16:17]
	v_cndmask_b32_e64 v12, -v28, v28, s[16:17]
	v_cndmask_b32_e64 v15, -v31, v31, s[16:17]
	v_cndmask_b32_e64 v14, -v30, v30, s[16:17]
	s_waitcnt lgkmcnt(1)
	;; [unrolled: 23-line block ×3, first 2 shown]
	v_pk_add_f32 v[14:15], v[14:15], v[42:43]
	v_pk_add_f32 v[12:13], v[12:13], v[20:21]
	ds_bpermute_b32 v16, v23, v8
	ds_bpermute_b32 v17, v23, v9
	;; [unrolled: 1-line block ×8, first 2 shown]
	v_cndmask_b32_e64 v13, -v13, v13, s[8:9]
	v_cndmask_b32_e64 v12, -v12, v12, s[8:9]
	;; [unrolled: 1-line block ×8, first 2 shown]
	s_waitcnt lgkmcnt(0)
	v_pk_add_f32 v[14:15], v[14:15], v[28:29]
	v_pk_add_f32 v[12:13], v[12:13], v[20:21]
	;; [unrolled: 1-line block ×4, first 2 shown]
	ds_bpermute_b32 v18, v23, v4
	ds_bpermute_b32 v19, v23, v5
	ds_bpermute_b32 v44, v23, v6
	ds_bpermute_b32 v45, v23, v7
	ds_write_b128 v33, v[12:15] offset:16384
	ds_bpermute_b32 v12, v22, v8
	ds_bpermute_b32 v13, v22, v9
	;; [unrolled: 1-line block ×4, first 2 shown]
	v_cndmask_b32_e64 v9, -v9, v9, s[8:9]
	v_cndmask_b32_e64 v8, -v8, v8, s[8:9]
	;; [unrolled: 1-line block ×8, first 2 shown]
	s_waitcnt lgkmcnt(0)
	v_pk_add_f32 v[10:11], v[10:11], v[14:15]
	v_pk_add_f32 v[8:9], v[8:9], v[12:13]
	;; [unrolled: 1-line block ×4, first 2 shown]
	ds_bpermute_b32 v24, v23, v0
	ds_bpermute_b32 v25, v23, v1
	;; [unrolled: 1-line block ×4, first 2 shown]
	ds_write_b128 v33, v[8:11] offset:20480
	ds_bpermute_b32 v8, v22, v4
	ds_bpermute_b32 v9, v22, v5
	;; [unrolled: 1-line block ×4, first 2 shown]
	v_cndmask_b32_e64 v5, -v5, v5, s[8:9]
	v_cndmask_b32_e64 v4, -v4, v4, s[8:9]
	;; [unrolled: 1-line block ×8, first 2 shown]
	s_waitcnt lgkmcnt(0)
	v_pk_add_f32 v[6:7], v[6:7], v[10:11]
	v_pk_add_f32 v[4:5], v[4:5], v[8:9]
	v_pk_add_f32 v[2:3], v[2:3], v[26:27]
	v_pk_add_f32 v[0:1], v[0:1], v[24:25]
	ds_write_b128 v33, v[4:7] offset:24576
	ds_bpermute_b32 v4, v22, v0
	ds_bpermute_b32 v5, v22, v1
	;; [unrolled: 1-line block ×4, first 2 shown]
	v_cndmask_b32_e64 v1, -v1, v1, s[8:9]
	v_cndmask_b32_e64 v0, -v0, v0, s[8:9]
	v_cndmask_b32_e64 v3, -v3, v3, s[8:9]
	v_cndmask_b32_e64 v2, -v2, v2, s[8:9]
	s_waitcnt lgkmcnt(0)
	v_pk_add_f32 v[2:3], v[2:3], v[6:7]
	v_pk_add_f32 v[0:1], v[0:1], v[4:5]
	ds_write_b128 v33, v[0:3] offset:28672
	s_waitcnt lgkmcnt(0)
	s_barrier
	ds_read_b128 v[16:19], v32
	ds_read_b128 v[0:3], v32 offset:4096
	ds_read_b128 v[20:23], v32 offset:8192
	ds_read_b128 v[4:7], v32 offset:12288
	ds_read_b128 v[24:27], v32 offset:16384
	ds_read_b128 v[8:11], v32 offset:20480
	ds_read_b128 v[28:31], v32 offset:24576
	ds_read_b128 v[12:15], v32 offset:28672
	s_waitcnt lgkmcnt(7)
	v_mov_b32_e32 v32, v16
	s_waitcnt lgkmcnt(3)
	v_mov_b32_e32 v33, v24
	v_mov_b32_e32 v38, v20
	s_waitcnt lgkmcnt(1)
	v_mov_b32_e32 v39, v28
	v_pk_add_f32 v[32:33], v[32:33], v[38:39]
	v_add_f32_e32 v38, v32, v33
	v_mul_f32_e32 v39, s20, v38
	s_mov_b32 s8, 0x7f800000
	v_and_b32_e32 v38, 0x7f800000, v39
	v_cmp_ne_u32_e64 s[8:9], s8, v38
                                        ; implicit-def: $vgpr38
	s_and_saveexec_b64 s[10:11], s[8:9]
	s_xor_b64 s[8:9], exec, s[10:11]
; %bb.9:
	v_bfe_u32 v38, v39, 16, 1
	s_movk_i32 s10, 0x7fff
	v_add3_u32 v38, v39, v38, s10
                                        ; implicit-def: $vgpr39
; %bb.10:
	s_andn2_saveexec_b64 s[10:11], s[8:9]
; %bb.11:
	v_mov_b32_e32 v38, 0
	v_or_b32_e32 v40, 0x10000, v39
	v_cmp_eq_u32_sdwa s[8:9], v39, v38 src0_sel:WORD_0 src1_sel:DWORD
	v_cndmask_b32_e64 v38, v40, v39, s[8:9]
; %bb.12:
	s_or_b64 exec, exec, s[10:11]
	v_add_f32_e32 v46, v17, v21
	v_add_f32_e32 v47, v25, v29
	;; [unrolled: 1-line block ×3, first 2 shown]
	v_mul_f32_e32 v40, s20, v39
	s_mov_b32 s8, 0x7f800000
	v_and_b32_e32 v39, 0x7f800000, v40
	v_cmp_ne_u32_e64 s[8:9], s8, v39
                                        ; implicit-def: $vgpr39
	s_and_saveexec_b64 s[10:11], s[8:9]
	s_xor_b64 s[8:9], exec, s[10:11]
; %bb.13:
	v_bfe_u32 v39, v40, 16, 1
	s_movk_i32 s10, 0x7fff
	v_add3_u32 v39, v40, v39, s10
                                        ; implicit-def: $vgpr40
; %bb.14:
	s_andn2_saveexec_b64 s[10:11], s[8:9]
; %bb.15:
	v_mov_b32_e32 v39, 0
	v_or_b32_e32 v41, 0x10000, v40
	v_cmp_eq_u32_sdwa s[8:9], v40, v39 src0_sel:WORD_0 src1_sel:DWORD
	v_cndmask_b32_e64 v39, v41, v40, s[8:9]
; %bb.16:
	s_or_b64 exec, exec, s[10:11]
	v_add_f32_e32 v48, v18, v22
	v_add_f32_e32 v49, v26, v30
	;; [unrolled: 1-line block ×3, first 2 shown]
	v_mul_f32_e32 v41, s20, v40
	s_mov_b32 s8, 0x7f800000
	v_and_b32_e32 v40, 0x7f800000, v41
	v_cmp_ne_u32_e64 s[8:9], s8, v40
                                        ; implicit-def: $vgpr40
	s_and_saveexec_b64 s[10:11], s[8:9]
	s_xor_b64 s[8:9], exec, s[10:11]
; %bb.17:
	v_bfe_u32 v40, v41, 16, 1
	s_movk_i32 s10, 0x7fff
	v_add3_u32 v40, v41, v40, s10
                                        ; implicit-def: $vgpr41
; %bb.18:
	s_andn2_saveexec_b64 s[10:11], s[8:9]
; %bb.19:
	v_mov_b32_e32 v40, 0
	v_or_b32_e32 v42, 0x10000, v41
	v_cmp_eq_u32_sdwa s[8:9], v41, v40 src0_sel:WORD_0 src1_sel:DWORD
	v_cndmask_b32_e64 v40, v42, v41, s[8:9]
; %bb.20:
	s_or_b64 exec, exec, s[10:11]
	v_add_f32_e32 v50, v19, v23
	v_add_f32_e32 v51, v27, v31
	;; [unrolled: 1-line block ×3, first 2 shown]
	v_mul_f32_e32 v42, s20, v41
	s_mov_b32 s8, 0x7f800000
	v_and_b32_e32 v41, 0x7f800000, v42
	v_cmp_ne_u32_e64 s[8:9], s8, v41
                                        ; implicit-def: $vgpr41
	s_and_saveexec_b64 s[10:11], s[8:9]
	s_xor_b64 s[8:9], exec, s[10:11]
; %bb.21:
	v_bfe_u32 v41, v42, 16, 1
	s_movk_i32 s10, 0x7fff
	v_add3_u32 v41, v42, v41, s10
                                        ; implicit-def: $vgpr42
; %bb.22:
	s_andn2_saveexec_b64 s[10:11], s[8:9]
; %bb.23:
	v_mov_b32_e32 v41, 0
	v_or_b32_e32 v43, 0x10000, v42
	v_cmp_eq_u32_sdwa s[8:9], v42, v41 src0_sel:WORD_0 src1_sel:DWORD
	v_cndmask_b32_e64 v41, v43, v42, s[8:9]
; %bb.24:
	s_or_b64 exec, exec, s[10:11]
	v_add_f32_e32 v52, v0, v4
	s_waitcnt lgkmcnt(0)
	v_add_f32_e32 v53, v8, v12
	v_add_f32_e32 v42, v52, v53
	v_mul_f32_e32 v43, s20, v42
	s_mov_b32 s8, 0x7f800000
	v_and_b32_e32 v42, 0x7f800000, v43
	v_cmp_ne_u32_e64 s[8:9], s8, v42
                                        ; implicit-def: $vgpr42
	s_and_saveexec_b64 s[10:11], s[8:9]
	s_xor_b64 s[8:9], exec, s[10:11]
; %bb.25:
	v_bfe_u32 v42, v43, 16, 1
	s_movk_i32 s10, 0x7fff
	v_add3_u32 v42, v43, v42, s10
                                        ; implicit-def: $vgpr43
; %bb.26:
	s_andn2_saveexec_b64 s[10:11], s[8:9]
; %bb.27:
	v_mov_b32_e32 v42, 0
	v_or_b32_e32 v44, 0x10000, v43
	v_cmp_eq_u32_sdwa s[8:9], v43, v42 src0_sel:WORD_0 src1_sel:DWORD
	v_cndmask_b32_e64 v42, v44, v43, s[8:9]
; %bb.28:
	s_or_b64 exec, exec, s[10:11]
	v_add_f32_e32 v54, v1, v5
	v_add_f32_e32 v55, v9, v13
	;; [unrolled: 1-line block ×3, first 2 shown]
	v_mul_f32_e32 v44, s20, v43
	s_mov_b32 s8, 0x7f800000
	v_and_b32_e32 v43, 0x7f800000, v44
	v_cmp_ne_u32_e64 s[8:9], s8, v43
                                        ; implicit-def: $vgpr43
	s_and_saveexec_b64 s[10:11], s[8:9]
	s_xor_b64 s[8:9], exec, s[10:11]
; %bb.29:
	v_bfe_u32 v43, v44, 16, 1
	s_movk_i32 s10, 0x7fff
	v_add3_u32 v43, v44, v43, s10
                                        ; implicit-def: $vgpr44
; %bb.30:
	s_andn2_saveexec_b64 s[10:11], s[8:9]
; %bb.31:
	v_mov_b32_e32 v43, 0
	v_or_b32_e32 v45, 0x10000, v44
	v_cmp_eq_u32_sdwa s[8:9], v44, v43 src0_sel:WORD_0 src1_sel:DWORD
	v_cndmask_b32_e64 v43, v45, v44, s[8:9]
; %bb.32:
	s_or_b64 exec, exec, s[10:11]
	v_add_f32_e32 v56, v2, v6
	v_add_f32_e32 v57, v10, v14
	;; [unrolled: 1-line block ×3, first 2 shown]
	v_mul_f32_e32 v45, s20, v44
	s_mov_b32 s8, 0x7f800000
	v_and_b32_e32 v44, 0x7f800000, v45
	v_cmp_ne_u32_e64 s[8:9], s8, v44
                                        ; implicit-def: $vgpr44
	s_and_saveexec_b64 s[10:11], s[8:9]
	s_xor_b64 s[8:9], exec, s[10:11]
; %bb.33:
	v_bfe_u32 v44, v45, 16, 1
	s_movk_i32 s10, 0x7fff
	v_add3_u32 v44, v45, v44, s10
                                        ; implicit-def: $vgpr45
; %bb.34:
	s_andn2_saveexec_b64 s[10:11], s[8:9]
; %bb.35:
	v_mov_b32_e32 v44, 0
	v_or_b32_e32 v58, 0x10000, v45
	v_cmp_eq_u32_sdwa s[8:9], v45, v44 src0_sel:WORD_0 src1_sel:DWORD
	v_cndmask_b32_e64 v44, v58, v45, s[8:9]
; %bb.36:
	s_or_b64 exec, exec, s[10:11]
	v_add_f32_e32 v58, v3, v7
	v_add_f32_e32 v59, v11, v15
	;; [unrolled: 1-line block ×3, first 2 shown]
	v_mul_f32_e32 v60, s20, v45
	s_mov_b32 s8, 0x7f800000
	v_and_b32_e32 v45, 0x7f800000, v60
	v_cmp_ne_u32_e64 s[8:9], s8, v45
                                        ; implicit-def: $vgpr45
	s_and_saveexec_b64 s[10:11], s[8:9]
	s_xor_b64 s[8:9], exec, s[10:11]
; %bb.37:
	v_bfe_u32 v45, v60, 16, 1
	s_movk_i32 s10, 0x7fff
	v_add3_u32 v45, v60, v45, s10
                                        ; implicit-def: $vgpr60
; %bb.38:
	s_andn2_saveexec_b64 s[10:11], s[8:9]
; %bb.39:
	v_mov_b32_e32 v45, 0
	v_or_b32_e32 v61, 0x10000, v60
	v_cmp_eq_u32_sdwa s[8:9], v60, v45 src0_sel:WORD_0 src1_sel:DWORD
	v_cndmask_b32_e64 v45, v61, v60, s[8:9]
; %bb.40:
	s_or_b64 exec, exec, s[10:11]
	v_sub_f32_e32 v20, v16, v20
	v_sub_f32_e32 v24, v24, v28
	v_add_f32_e32 v16, v20, v24
	v_mul_f32_e32 v28, s20, v16
	s_mov_b32 s8, 0x7f800000
	v_and_b32_e32 v16, 0x7f800000, v28
	v_cmp_ne_u32_e64 s[8:9], s8, v16
                                        ; implicit-def: $vgpr16
	s_and_saveexec_b64 s[10:11], s[8:9]
	s_xor_b64 s[8:9], exec, s[10:11]
; %bb.41:
	v_bfe_u32 v16, v28, 16, 1
	s_movk_i32 s10, 0x7fff
	v_add3_u32 v16, v28, v16, s10
                                        ; implicit-def: $vgpr28
; %bb.42:
	s_andn2_saveexec_b64 s[10:11], s[8:9]
; %bb.43:
	v_mov_b32_e32 v16, 0
	v_or_b32_e32 v60, 0x10000, v28
	v_cmp_eq_u32_sdwa s[8:9], v28, v16 src0_sel:WORD_0 src1_sel:DWORD
	v_cndmask_b32_e64 v16, v60, v28, s[8:9]
; %bb.44:
	s_or_b64 exec, exec, s[10:11]
	v_sub_f32_e32 v21, v17, v21
	v_sub_f32_e32 v25, v25, v29
	v_add_f32_e32 v17, v21, v25
	v_mul_f32_e32 v28, s20, v17
	s_mov_b32 s8, 0x7f800000
	v_and_b32_e32 v17, 0x7f800000, v28
	v_cmp_ne_u32_e64 s[8:9], s8, v17
                                        ; implicit-def: $vgpr17
	s_and_saveexec_b64 s[10:11], s[8:9]
	s_xor_b64 s[8:9], exec, s[10:11]
; %bb.45:
	v_bfe_u32 v17, v28, 16, 1
	s_movk_i32 s10, 0x7fff
	v_add3_u32 v17, v28, v17, s10
                                        ; implicit-def: $vgpr28
; %bb.46:
	s_andn2_saveexec_b64 s[10:11], s[8:9]
; %bb.47:
	v_mov_b32_e32 v17, 0
	v_or_b32_e32 v29, 0x10000, v28
	v_cmp_eq_u32_sdwa s[8:9], v28, v17 src0_sel:WORD_0 src1_sel:DWORD
	v_cndmask_b32_e64 v17, v29, v28, s[8:9]
; %bb.48:
	s_or_b64 exec, exec, s[10:11]
	v_sub_f32_e32 v22, v18, v22
	v_sub_f32_e32 v26, v26, v30
	v_add_f32_e32 v18, v22, v26
	v_mul_f32_e32 v28, s20, v18
	s_mov_b32 s8, 0x7f800000
	v_and_b32_e32 v18, 0x7f800000, v28
	v_cmp_ne_u32_e64 s[8:9], s8, v18
                                        ; implicit-def: $vgpr18
	s_and_saveexec_b64 s[10:11], s[8:9]
	s_xor_b64 s[8:9], exec, s[10:11]
; %bb.49:
	v_bfe_u32 v18, v28, 16, 1
	s_movk_i32 s10, 0x7fff
	v_add3_u32 v18, v28, v18, s10
                                        ; implicit-def: $vgpr28
; %bb.50:
	s_andn2_saveexec_b64 s[10:11], s[8:9]
; %bb.51:
	v_mov_b32_e32 v18, 0
	v_or_b32_e32 v29, 0x10000, v28
	v_cmp_eq_u32_sdwa s[8:9], v28, v18 src0_sel:WORD_0 src1_sel:DWORD
	v_cndmask_b32_e64 v18, v29, v28, s[8:9]
; %bb.52:
	s_or_b64 exec, exec, s[10:11]
	v_sub_f32_e32 v23, v19, v23
	v_sub_f32_e32 v27, v27, v31
	v_add_f32_e32 v19, v23, v27
	v_mul_f32_e32 v28, s20, v19
	s_mov_b32 s8, 0x7f800000
	v_and_b32_e32 v19, 0x7f800000, v28
	v_cmp_ne_u32_e64 s[8:9], s8, v19
                                        ; implicit-def: $vgpr19
	s_and_saveexec_b64 s[10:11], s[8:9]
	s_xor_b64 s[8:9], exec, s[10:11]
; %bb.53:
	v_bfe_u32 v19, v28, 16, 1
	s_movk_i32 s10, 0x7fff
	v_add3_u32 v19, v28, v19, s10
                                        ; implicit-def: $vgpr28
; %bb.54:
	s_andn2_saveexec_b64 s[10:11], s[8:9]
; %bb.55:
	v_mov_b32_e32 v19, 0
	v_or_b32_e32 v29, 0x10000, v28
	v_cmp_eq_u32_sdwa s[8:9], v28, v19 src0_sel:WORD_0 src1_sel:DWORD
	v_cndmask_b32_e64 v19, v29, v28, s[8:9]
; %bb.56:
	s_or_b64 exec, exec, s[10:11]
	v_sub_f32_e32 v28, v0, v4
	v_sub_f32_e32 v8, v8, v12
	v_add_f32_e32 v0, v28, v8
	v_mul_f32_e32 v0, s20, v0
	s_mov_b32 s8, 0x7f800000
	v_and_b32_e32 v4, 0x7f800000, v0
	v_cmp_ne_u32_e64 s[8:9], s8, v4
                                        ; implicit-def: $vgpr4
	s_and_saveexec_b64 s[10:11], s[8:9]
	s_xor_b64 s[8:9], exec, s[10:11]
; %bb.57:
	v_bfe_u32 v4, v0, 16, 1
	s_movk_i32 s10, 0x7fff
	v_add3_u32 v4, v0, v4, s10
                                        ; implicit-def: $vgpr0
; %bb.58:
	s_andn2_saveexec_b64 s[10:11], s[8:9]
; %bb.59:
	v_mov_b32_e32 v4, 0
	v_or_b32_e32 v12, 0x10000, v0
	v_cmp_eq_u32_sdwa s[8:9], v0, v4 src0_sel:WORD_0 src1_sel:DWORD
	v_cndmask_b32_e64 v4, v12, v0, s[8:9]
; %bb.60:
	s_or_b64 exec, exec, s[10:11]
	v_sub_f32_e32 v5, v1, v5
	v_sub_f32_e32 v9, v9, v13
	v_add_f32_e32 v0, v5, v9
	v_mul_f32_e32 v0, s20, v0
	s_mov_b32 s8, 0x7f800000
	v_and_b32_e32 v1, 0x7f800000, v0
	v_cmp_ne_u32_e64 s[8:9], s8, v1
                                        ; implicit-def: $vgpr1
	s_and_saveexec_b64 s[10:11], s[8:9]
	s_xor_b64 s[8:9], exec, s[10:11]
; %bb.61:
	v_bfe_u32 v1, v0, 16, 1
	s_movk_i32 s10, 0x7fff
	v_add3_u32 v1, v0, v1, s10
                                        ; implicit-def: $vgpr0
; %bb.62:
	s_andn2_saveexec_b64 s[10:11], s[8:9]
; %bb.63:
	v_mov_b32_e32 v1, 0
	v_or_b32_e32 v12, 0x10000, v0
	v_cmp_eq_u32_sdwa s[8:9], v0, v1 src0_sel:WORD_0 src1_sel:DWORD
	v_cndmask_b32_e64 v1, v12, v0, s[8:9]
; %bb.64:
	s_or_b64 exec, exec, s[10:11]
	v_sub_f32_e32 v12, v2, v6
	v_sub_f32_e32 v10, v10, v14
	v_add_f32_e32 v0, v12, v10
	v_mul_f32_e32 v0, s20, v0
	s_mov_b32 s8, 0x7f800000
	v_and_b32_e32 v2, 0x7f800000, v0
	v_cmp_ne_u32_e64 s[8:9], s8, v2
                                        ; implicit-def: $vgpr2
	s_and_saveexec_b64 s[10:11], s[8:9]
	s_xor_b64 s[8:9], exec, s[10:11]
; %bb.65:
	v_bfe_u32 v2, v0, 16, 1
	s_movk_i32 s10, 0x7fff
	v_add3_u32 v2, v0, v2, s10
                                        ; implicit-def: $vgpr0
; %bb.66:
	s_andn2_saveexec_b64 s[10:11], s[8:9]
; %bb.67:
	v_mov_b32_e32 v2, 0
	v_or_b32_e32 v6, 0x10000, v0
	v_cmp_eq_u32_sdwa s[8:9], v0, v2 src0_sel:WORD_0 src1_sel:DWORD
	v_cndmask_b32_e64 v2, v6, v0, s[8:9]
; %bb.68:
	s_or_b64 exec, exec, s[10:11]
	v_sub_f32_e32 v7, v3, v7
	v_sub_f32_e32 v11, v11, v15
	v_add_f32_e32 v0, v7, v11
	v_mul_f32_e32 v6, s20, v0
	s_mov_b32 s8, 0x7f800000
	v_and_b32_e32 v0, 0x7f800000, v6
	v_cmp_ne_u32_e64 s[8:9], s8, v0
                                        ; implicit-def: $vgpr3
	s_and_saveexec_b64 s[10:11], s[8:9]
	s_xor_b64 s[8:9], exec, s[10:11]
; %bb.69:
	v_bfe_u32 v0, v6, 16, 1
	s_movk_i32 s10, 0x7fff
	v_add3_u32 v3, v6, v0, s10
                                        ; implicit-def: $vgpr6
; %bb.70:
	s_or_saveexec_b64 s[10:11], s[8:9]
	v_mov_b32_e32 v0, v33
	s_xor_b64 exec, exec, s[10:11]
; %bb.71:
	v_mov_b32_e32 v3, 0
	v_or_b32_e32 v13, 0x10000, v6
	v_cmp_eq_u32_sdwa s[8:9], v6, v3 src0_sel:WORD_0 src1_sel:DWORD
	v_cndmask_b32_e64 v3, v13, v6, s[8:9]
; %bb.72:
	s_or_b64 exec, exec, s[10:11]
	v_sub_f32_e32 v0, v32, v0
	v_mul_f32_e32 v6, s20, v0
	s_mov_b32 s8, 0x7f800000
	v_and_b32_e32 v0, 0x7f800000, v6
	v_cmp_ne_u32_e64 s[8:9], s8, v0
                                        ; implicit-def: $vgpr0
	s_and_saveexec_b64 s[10:11], s[8:9]
	s_xor_b64 s[8:9], exec, s[10:11]
; %bb.73:
	v_bfe_u32 v0, v6, 16, 1
	s_movk_i32 s10, 0x7fff
	v_add3_u32 v0, v6, v0, s10
                                        ; implicit-def: $vgpr6
; %bb.74:
	s_andn2_saveexec_b64 s[10:11], s[8:9]
; %bb.75:
	v_mov_b32_e32 v0, 0
	v_or_b32_e32 v13, 0x10000, v6
	v_cmp_eq_u32_sdwa s[8:9], v6, v0 src0_sel:WORD_0 src1_sel:DWORD
	v_cndmask_b32_e64 v0, v13, v6, s[8:9]
; %bb.76:
	s_or_b64 exec, exec, s[10:11]
	v_sub_f32_e32 v6, v46, v47
	v_mul_f32_e32 v13, s20, v6
	s_mov_b32 s8, 0x7f800000
	v_and_b32_e32 v6, 0x7f800000, v13
	v_cmp_ne_u32_e64 s[8:9], s8, v6
                                        ; implicit-def: $vgpr6
	s_and_saveexec_b64 s[10:11], s[8:9]
	s_xor_b64 s[8:9], exec, s[10:11]
; %bb.77:
	v_bfe_u32 v6, v13, 16, 1
	s_movk_i32 s10, 0x7fff
	v_add3_u32 v6, v13, v6, s10
                                        ; implicit-def: $vgpr13
; %bb.78:
	s_andn2_saveexec_b64 s[10:11], s[8:9]
; %bb.79:
	v_mov_b32_e32 v6, 0
	v_or_b32_e32 v14, 0x10000, v13
	v_cmp_eq_u32_sdwa s[8:9], v13, v6 src0_sel:WORD_0 src1_sel:DWORD
	v_cndmask_b32_e64 v6, v14, v13, s[8:9]
; %bb.80:
	s_or_b64 exec, exec, s[10:11]
	v_sub_f32_e32 v13, v48, v49
	v_mul_f32_e32 v14, s20, v13
	s_mov_b32 s8, 0x7f800000
	v_and_b32_e32 v13, 0x7f800000, v14
	v_cmp_ne_u32_e64 s[8:9], s8, v13
                                        ; implicit-def: $vgpr13
	s_and_saveexec_b64 s[10:11], s[8:9]
	s_xor_b64 s[8:9], exec, s[10:11]
; %bb.81:
	v_bfe_u32 v13, v14, 16, 1
	s_movk_i32 s10, 0x7fff
	v_add3_u32 v13, v14, v13, s10
                                        ; implicit-def: $vgpr14
; %bb.82:
	s_andn2_saveexec_b64 s[10:11], s[8:9]
; %bb.83:
	v_mov_b32_e32 v13, 0
	v_or_b32_e32 v15, 0x10000, v14
	v_cmp_eq_u32_sdwa s[8:9], v14, v13 src0_sel:WORD_0 src1_sel:DWORD
	v_cndmask_b32_e64 v13, v15, v14, s[8:9]
; %bb.84:
	s_or_b64 exec, exec, s[10:11]
	v_sub_f32_e32 v14, v50, v51
	v_mul_f32_e32 v15, s20, v14
	s_mov_b32 s8, 0x7f800000
	v_and_b32_e32 v14, 0x7f800000, v15
	v_cmp_ne_u32_e64 s[8:9], s8, v14
                                        ; implicit-def: $vgpr14
	s_and_saveexec_b64 s[10:11], s[8:9]
	s_xor_b64 s[8:9], exec, s[10:11]
; %bb.85:
	v_bfe_u32 v14, v15, 16, 1
	s_movk_i32 s10, 0x7fff
	v_add3_u32 v14, v15, v14, s10
                                        ; implicit-def: $vgpr15
; %bb.86:
	s_andn2_saveexec_b64 s[10:11], s[8:9]
; %bb.87:
	v_mov_b32_e32 v14, 0
	v_or_b32_e32 v29, 0x10000, v15
	v_cmp_eq_u32_sdwa s[8:9], v15, v14 src0_sel:WORD_0 src1_sel:DWORD
	v_cndmask_b32_e64 v14, v29, v15, s[8:9]
; %bb.88:
	s_or_b64 exec, exec, s[10:11]
	v_sub_f32_e32 v15, v52, v53
	v_mul_f32_e32 v29, s20, v15
	s_mov_b32 s8, 0x7f800000
	v_and_b32_e32 v15, 0x7f800000, v29
	v_cmp_ne_u32_e64 s[8:9], s8, v15
                                        ; implicit-def: $vgpr15
	s_and_saveexec_b64 s[10:11], s[8:9]
	s_xor_b64 s[8:9], exec, s[10:11]
; %bb.89:
	v_bfe_u32 v15, v29, 16, 1
	s_movk_i32 s10, 0x7fff
	v_add3_u32 v15, v29, v15, s10
                                        ; implicit-def: $vgpr29
; %bb.90:
	s_andn2_saveexec_b64 s[10:11], s[8:9]
; %bb.91:
	v_mov_b32_e32 v15, 0
	v_or_b32_e32 v30, 0x10000, v29
	v_cmp_eq_u32_sdwa s[8:9], v29, v15 src0_sel:WORD_0 src1_sel:DWORD
	v_cndmask_b32_e64 v15, v30, v29, s[8:9]
; %bb.92:
	s_or_b64 exec, exec, s[10:11]
	v_sub_f32_e32 v29, v54, v55
	v_mul_f32_e32 v30, s20, v29
	s_mov_b32 s8, 0x7f800000
	v_and_b32_e32 v29, 0x7f800000, v30
	v_cmp_ne_u32_e64 s[8:9], s8, v29
                                        ; implicit-def: $vgpr29
	s_and_saveexec_b64 s[10:11], s[8:9]
	s_xor_b64 s[8:9], exec, s[10:11]
; %bb.93:
	v_bfe_u32 v29, v30, 16, 1
	s_movk_i32 s10, 0x7fff
	v_add3_u32 v29, v30, v29, s10
                                        ; implicit-def: $vgpr30
; %bb.94:
	s_andn2_saveexec_b64 s[10:11], s[8:9]
; %bb.95:
	v_mov_b32_e32 v29, 0
	v_or_b32_e32 v31, 0x10000, v30
	v_cmp_eq_u32_sdwa s[8:9], v30, v29 src0_sel:WORD_0 src1_sel:DWORD
	v_cndmask_b32_e64 v29, v31, v30, s[8:9]
; %bb.96:
	s_or_b64 exec, exec, s[10:11]
	v_sub_f32_e32 v30, v56, v57
	v_mul_f32_e32 v31, s20, v30
	s_mov_b32 s8, 0x7f800000
	v_and_b32_e32 v30, 0x7f800000, v31
	v_cmp_ne_u32_e64 s[8:9], s8, v30
                                        ; implicit-def: $vgpr30
	s_and_saveexec_b64 s[10:11], s[8:9]
	s_xor_b64 s[8:9], exec, s[10:11]
; %bb.97:
	v_bfe_u32 v30, v31, 16, 1
	s_movk_i32 s10, 0x7fff
	v_add3_u32 v30, v31, v30, s10
                                        ; implicit-def: $vgpr31
; %bb.98:
	s_andn2_saveexec_b64 s[10:11], s[8:9]
; %bb.99:
	v_mov_b32_e32 v30, 0
	v_or_b32_e32 v32, 0x10000, v31
	v_cmp_eq_u32_sdwa s[8:9], v31, v30 src0_sel:WORD_0 src1_sel:DWORD
	v_cndmask_b32_e64 v30, v32, v31, s[8:9]
; %bb.100:
	s_or_b64 exec, exec, s[10:11]
	v_sub_f32_e32 v31, v58, v59
	v_mul_f32_e32 v32, s20, v31
	s_mov_b32 s8, 0x7f800000
	v_and_b32_e32 v31, 0x7f800000, v32
	v_cmp_ne_u32_e64 s[8:9], s8, v31
                                        ; implicit-def: $vgpr31
	s_and_saveexec_b64 s[10:11], s[8:9]
	s_xor_b64 s[8:9], exec, s[10:11]
; %bb.101:
	v_bfe_u32 v31, v32, 16, 1
	s_movk_i32 s10, 0x7fff
	v_add3_u32 v31, v32, v31, s10
                                        ; implicit-def: $vgpr32
; %bb.102:
	s_andn2_saveexec_b64 s[10:11], s[8:9]
; %bb.103:
	v_mov_b32_e32 v31, 0
	v_or_b32_e32 v33, 0x10000, v32
	v_cmp_eq_u32_sdwa s[8:9], v32, v31 src0_sel:WORD_0 src1_sel:DWORD
	v_cndmask_b32_e64 v31, v33, v32, s[8:9]
; %bb.104:
	s_or_b64 exec, exec, s[10:11]
	v_sub_f32_e32 v20, v20, v24
	v_mul_f32_e32 v24, s20, v20
	s_mov_b32 s8, 0x7f800000
	v_and_b32_e32 v20, 0x7f800000, v24
	v_cmp_ne_u32_e64 s[8:9], s8, v20
                                        ; implicit-def: $vgpr20
	s_and_saveexec_b64 s[10:11], s[8:9]
	s_xor_b64 s[8:9], exec, s[10:11]
; %bb.105:
	v_bfe_u32 v20, v24, 16, 1
	s_movk_i32 s10, 0x7fff
	v_add3_u32 v20, v24, v20, s10
                                        ; implicit-def: $vgpr24
; %bb.106:
	s_andn2_saveexec_b64 s[10:11], s[8:9]
; %bb.107:
	v_mov_b32_e32 v20, 0
	v_or_b32_e32 v32, 0x10000, v24
	v_cmp_eq_u32_sdwa s[8:9], v24, v20 src0_sel:WORD_0 src1_sel:DWORD
	v_cndmask_b32_e64 v20, v32, v24, s[8:9]
; %bb.108:
	s_or_b64 exec, exec, s[10:11]
	v_sub_f32_e32 v21, v21, v25
	v_mul_f32_e32 v24, s20, v21
	s_mov_b32 s8, 0x7f800000
	v_and_b32_e32 v21, 0x7f800000, v24
	v_cmp_ne_u32_e64 s[8:9], s8, v21
                                        ; implicit-def: $vgpr21
	s_and_saveexec_b64 s[10:11], s[8:9]
	s_xor_b64 s[8:9], exec, s[10:11]
; %bb.109:
	v_bfe_u32 v21, v24, 16, 1
	s_movk_i32 s10, 0x7fff
	v_add3_u32 v21, v24, v21, s10
                                        ; implicit-def: $vgpr24
; %bb.110:
	s_andn2_saveexec_b64 s[10:11], s[8:9]
; %bb.111:
	v_mov_b32_e32 v21, 0
	v_or_b32_e32 v25, 0x10000, v24
	v_cmp_eq_u32_sdwa s[8:9], v24, v21 src0_sel:WORD_0 src1_sel:DWORD
	v_cndmask_b32_e64 v21, v25, v24, s[8:9]
; %bb.112:
	s_or_b64 exec, exec, s[10:11]
	v_sub_f32_e32 v22, v22, v26
	v_mul_f32_e32 v24, s20, v22
	s_mov_b32 s8, 0x7f800000
	v_and_b32_e32 v22, 0x7f800000, v24
	v_cmp_ne_u32_e64 s[8:9], s8, v22
                                        ; implicit-def: $vgpr22
	s_and_saveexec_b64 s[10:11], s[8:9]
	s_xor_b64 s[8:9], exec, s[10:11]
; %bb.113:
	v_bfe_u32 v22, v24, 16, 1
	s_movk_i32 s10, 0x7fff
	v_add3_u32 v22, v24, v22, s10
                                        ; implicit-def: $vgpr24
; %bb.114:
	s_andn2_saveexec_b64 s[10:11], s[8:9]
; %bb.115:
	v_mov_b32_e32 v22, 0
	v_or_b32_e32 v25, 0x10000, v24
	v_cmp_eq_u32_sdwa s[8:9], v24, v22 src0_sel:WORD_0 src1_sel:DWORD
	v_cndmask_b32_e64 v22, v25, v24, s[8:9]
; %bb.116:
	s_or_b64 exec, exec, s[10:11]
	v_sub_f32_e32 v23, v23, v27
	v_mul_f32_e32 v24, s20, v23
	s_mov_b32 s8, 0x7f800000
	v_and_b32_e32 v23, 0x7f800000, v24
	v_cmp_ne_u32_e64 s[8:9], s8, v23
                                        ; implicit-def: $vgpr23
	s_and_saveexec_b64 s[10:11], s[8:9]
	s_xor_b64 s[8:9], exec, s[10:11]
; %bb.117:
	v_bfe_u32 v23, v24, 16, 1
	s_movk_i32 s10, 0x7fff
	v_add3_u32 v23, v24, v23, s10
                                        ; implicit-def: $vgpr24
; %bb.118:
	s_andn2_saveexec_b64 s[10:11], s[8:9]
; %bb.119:
	v_mov_b32_e32 v23, 0
	v_or_b32_e32 v25, 0x10000, v24
	v_cmp_eq_u32_sdwa s[8:9], v24, v23 src0_sel:WORD_0 src1_sel:DWORD
	v_cndmask_b32_e64 v23, v25, v24, s[8:9]
; %bb.120:
	s_or_b64 exec, exec, s[10:11]
	v_sub_f32_e32 v8, v28, v8
	v_mul_f32_e32 v24, s20, v8
	s_mov_b32 s8, 0x7f800000
	v_and_b32_e32 v8, 0x7f800000, v24
	v_cmp_ne_u32_e64 s[8:9], s8, v8
                                        ; implicit-def: $vgpr8
	s_and_saveexec_b64 s[10:11], s[8:9]
	s_xor_b64 s[8:9], exec, s[10:11]
; %bb.121:
	v_bfe_u32 v8, v24, 16, 1
	s_movk_i32 s10, 0x7fff
	v_add3_u32 v8, v24, v8, s10
                                        ; implicit-def: $vgpr24
; %bb.122:
	s_andn2_saveexec_b64 s[10:11], s[8:9]
; %bb.123:
	v_mov_b32_e32 v8, 0
	v_or_b32_e32 v25, 0x10000, v24
	v_cmp_eq_u32_sdwa s[8:9], v24, v8 src0_sel:WORD_0 src1_sel:DWORD
	v_cndmask_b32_e64 v8, v25, v24, s[8:9]
; %bb.124:
	s_or_b64 exec, exec, s[10:11]
	v_sub_f32_e32 v5, v5, v9
	v_mul_f32_e32 v9, s20, v5
	s_mov_b32 s8, 0x7f800000
	v_and_b32_e32 v5, 0x7f800000, v9
	v_cmp_ne_u32_e64 s[8:9], s8, v5
                                        ; implicit-def: $vgpr5
	s_and_saveexec_b64 s[10:11], s[8:9]
	s_xor_b64 s[8:9], exec, s[10:11]
; %bb.125:
	v_bfe_u32 v5, v9, 16, 1
	s_movk_i32 s10, 0x7fff
	v_add3_u32 v5, v9, v5, s10
                                        ; implicit-def: $vgpr9
; %bb.126:
	s_andn2_saveexec_b64 s[10:11], s[8:9]
; %bb.127:
	v_mov_b32_e32 v5, 0
	v_or_b32_e32 v24, 0x10000, v9
	v_cmp_eq_u32_sdwa s[8:9], v9, v5 src0_sel:WORD_0 src1_sel:DWORD
	v_cndmask_b32_e64 v5, v24, v9, s[8:9]
; %bb.128:
	s_or_b64 exec, exec, s[10:11]
	v_sub_f32_e32 v9, v12, v10
	v_mul_f32_e32 v10, s20, v9
	s_mov_b32 s8, 0x7f800000
	v_and_b32_e32 v9, 0x7f800000, v10
	v_cmp_ne_u32_e64 s[8:9], s8, v9
                                        ; implicit-def: $vgpr9
	s_and_saveexec_b64 s[10:11], s[8:9]
	s_xor_b64 s[8:9], exec, s[10:11]
; %bb.129:
	v_bfe_u32 v9, v10, 16, 1
	s_movk_i32 s10, 0x7fff
	v_add3_u32 v9, v10, v9, s10
                                        ; implicit-def: $vgpr10
; %bb.130:
	s_andn2_saveexec_b64 s[10:11], s[8:9]
; %bb.131:
	v_mov_b32_e32 v9, 0
	v_or_b32_e32 v12, 0x10000, v10
	v_cmp_eq_u32_sdwa s[8:9], v10, v9 src0_sel:WORD_0 src1_sel:DWORD
	v_cndmask_b32_e64 v9, v12, v10, s[8:9]
; %bb.132:
	s_or_b64 exec, exec, s[10:11]
	v_sub_f32_e32 v7, v7, v11
	v_mul_f32_e32 v10, s20, v7
	s_mov_b32 s8, 0x7f800000
	v_and_b32_e32 v7, 0x7f800000, v10
	v_cmp_ne_u32_e64 s[8:9], s8, v7
                                        ; implicit-def: $vgpr7
	s_and_saveexec_b64 s[10:11], s[8:9]
	s_xor_b64 s[8:9], exec, s[10:11]
; %bb.133:
	v_bfe_u32 v7, v10, 16, 1
	s_movk_i32 s10, 0x7fff
	v_add3_u32 v7, v10, v7, s10
                                        ; implicit-def: $vgpr10
; %bb.134:
	s_andn2_saveexec_b64 s[10:11], s[8:9]
; %bb.135:
	v_mov_b32_e32 v7, 0
	v_or_b32_e32 v11, 0x10000, v10
	v_cmp_eq_u32_sdwa s[8:9], v10, v7 src0_sel:WORD_0 src1_sel:DWORD
	v_cndmask_b32_e64 v7, v11, v10, s[8:9]
; %bb.136:
	s_or_b64 exec, exec, s[10:11]
	s_mul_i32 s7, s18, s7
	s_mul_hi_u32 s8, s18, s6
	s_add_i32 s7, s8, s7
	s_mul_i32 s8, s19, s6
	s_add_i32 s7, s7, s8
	s_mul_i32 s6, s18, s6
	s_lshl_b64 s[6:7], s[6:7], 1
	s_add_u32 s6, s22, s6
	s_addc_u32 s7, s23, s7
	s_and_saveexec_b64 s[8:9], vcc
	s_cbranch_execnz .LBB36_141
; %bb.137:
	s_or_b64 exec, exec, s[8:9]
	s_and_saveexec_b64 s[8:9], s[0:1]
	s_cbranch_execnz .LBB36_142
.LBB36_138:
	s_or_b64 exec, exec, s[8:9]
	s_and_saveexec_b64 s[0:1], s[2:3]
	s_cbranch_execnz .LBB36_143
.LBB36_139:
	s_or_b64 exec, exec, s[0:1]
	s_and_saveexec_b64 s[0:1], s[4:5]
	s_cbranch_execnz .LBB36_144
.LBB36_140:
	s_endpgm
.LBB36_141:
	s_mov_b32 s10, 0x7060302
	v_perm_b32 v27, v45, v44, s10
	v_perm_b32 v26, v43, v42, s10
	;; [unrolled: 1-line block ×4, first 2 shown]
	global_store_dwordx4 v34, v[24:27], s[6:7]
	s_or_b64 exec, exec, s[8:9]
	s_and_saveexec_b64 s[8:9], s[0:1]
	s_cbranch_execz .LBB36_138
.LBB36_142:
	s_mov_b32 s0, 0x7060302
	v_perm_b32 v27, v3, v2, s0
	v_perm_b32 v26, v1, v4, s0
	;; [unrolled: 1-line block ×4, first 2 shown]
	global_store_dwordx4 v35, v[24:27], s[6:7]
	s_or_b64 exec, exec, s[8:9]
	s_and_saveexec_b64 s[0:1], s[2:3]
	s_cbranch_execz .LBB36_139
.LBB36_143:
	s_mov_b32 s2, 0x7060302
	v_perm_b32 v3, v31, v30, s2
	v_perm_b32 v2, v29, v15, s2
	;; [unrolled: 1-line block ×4, first 2 shown]
	global_store_dwordx4 v36, v[0:3], s[6:7]
	s_or_b64 exec, exec, s[0:1]
	s_and_saveexec_b64 s[0:1], s[4:5]
	s_cbranch_execz .LBB36_140
.LBB36_144:
	s_mov_b32 s0, 0x7060302
	v_perm_b32 v3, v7, v9, s0
	v_perm_b32 v2, v5, v8, s0
	;; [unrolled: 1-line block ×4, first 2 shown]
	global_store_dwordx4 v37, v[0:3], s[6:7]
	s_endpgm
	.section	.rodata,"a",@progbits
	.p2align	6, 0x0
	.amdhsa_kernel _Z30fast_hadamard_transform_kernelI37fast_hadamard_transform_kernel_traitsILi256ELi13E14__hip_bfloat16EEv18HadamardParamsBase
		.amdhsa_group_segment_fixed_size 0
		.amdhsa_private_segment_fixed_size 0
		.amdhsa_kernarg_size 312
		.amdhsa_user_sgpr_count 6
		.amdhsa_user_sgpr_private_segment_buffer 1
		.amdhsa_user_sgpr_dispatch_ptr 0
		.amdhsa_user_sgpr_queue_ptr 0
		.amdhsa_user_sgpr_kernarg_segment_ptr 1
		.amdhsa_user_sgpr_dispatch_id 0
		.amdhsa_user_sgpr_flat_scratch_init 0
		.amdhsa_user_sgpr_kernarg_preload_length 0
		.amdhsa_user_sgpr_kernarg_preload_offset 0
		.amdhsa_user_sgpr_private_segment_size 0
		.amdhsa_uses_dynamic_stack 0
		.amdhsa_system_sgpr_private_segment_wavefront_offset 0
		.amdhsa_system_sgpr_workgroup_id_x 1
		.amdhsa_system_sgpr_workgroup_id_y 0
		.amdhsa_system_sgpr_workgroup_id_z 0
		.amdhsa_system_sgpr_workgroup_info 0
		.amdhsa_system_vgpr_workitem_id 0
		.amdhsa_next_free_vgpr 72
		.amdhsa_next_free_sgpr 24
		.amdhsa_accum_offset 72
		.amdhsa_reserve_vcc 1
		.amdhsa_reserve_flat_scratch 0
		.amdhsa_float_round_mode_32 0
		.amdhsa_float_round_mode_16_64 0
		.amdhsa_float_denorm_mode_32 3
		.amdhsa_float_denorm_mode_16_64 3
		.amdhsa_dx10_clamp 1
		.amdhsa_ieee_mode 1
		.amdhsa_fp16_overflow 0
		.amdhsa_tg_split 0
		.amdhsa_exception_fp_ieee_invalid_op 0
		.amdhsa_exception_fp_denorm_src 0
		.amdhsa_exception_fp_ieee_div_zero 0
		.amdhsa_exception_fp_ieee_overflow 0
		.amdhsa_exception_fp_ieee_underflow 0
		.amdhsa_exception_fp_ieee_inexact 0
		.amdhsa_exception_int_div_zero 0
	.end_amdhsa_kernel
	.section	.text._Z30fast_hadamard_transform_kernelI37fast_hadamard_transform_kernel_traitsILi256ELi13E14__hip_bfloat16EEv18HadamardParamsBase,"axG",@progbits,_Z30fast_hadamard_transform_kernelI37fast_hadamard_transform_kernel_traitsILi256ELi13E14__hip_bfloat16EEv18HadamardParamsBase,comdat
.Lfunc_end36:
	.size	_Z30fast_hadamard_transform_kernelI37fast_hadamard_transform_kernel_traitsILi256ELi13E14__hip_bfloat16EEv18HadamardParamsBase, .Lfunc_end36-_Z30fast_hadamard_transform_kernelI37fast_hadamard_transform_kernel_traitsILi256ELi13E14__hip_bfloat16EEv18HadamardParamsBase
                                        ; -- End function
	.section	.AMDGPU.csdata,"",@progbits
; Kernel info:
; codeLenInByte = 10976
; NumSgprs: 28
; NumVgprs: 72
; NumAgprs: 0
; TotalNumVgprs: 72
; ScratchSize: 0
; MemoryBound: 0
; FloatMode: 240
; IeeeMode: 1
; LDSByteSize: 0 bytes/workgroup (compile time only)
; SGPRBlocks: 3
; VGPRBlocks: 8
; NumSGPRsForWavesPerEU: 28
; NumVGPRsForWavesPerEU: 72
; AccumOffset: 72
; Occupancy: 7
; WaveLimiterHint : 0
; COMPUTE_PGM_RSRC2:SCRATCH_EN: 0
; COMPUTE_PGM_RSRC2:USER_SGPR: 6
; COMPUTE_PGM_RSRC2:TRAP_HANDLER: 0
; COMPUTE_PGM_RSRC2:TGID_X_EN: 1
; COMPUTE_PGM_RSRC2:TGID_Y_EN: 0
; COMPUTE_PGM_RSRC2:TGID_Z_EN: 0
; COMPUTE_PGM_RSRC2:TIDIG_COMP_CNT: 0
; COMPUTE_PGM_RSRC3_GFX90A:ACCUM_OFFSET: 17
; COMPUTE_PGM_RSRC3_GFX90A:TG_SPLIT: 0
	.section	.text._Z30fast_hadamard_transform_kernelI37fast_hadamard_transform_kernel_traitsILi256ELi14E14__hip_bfloat16EEv18HadamardParamsBase,"axG",@progbits,_Z30fast_hadamard_transform_kernelI37fast_hadamard_transform_kernel_traitsILi256ELi14E14__hip_bfloat16EEv18HadamardParamsBase,comdat
	.protected	_Z30fast_hadamard_transform_kernelI37fast_hadamard_transform_kernel_traitsILi256ELi14E14__hip_bfloat16EEv18HadamardParamsBase ; -- Begin function _Z30fast_hadamard_transform_kernelI37fast_hadamard_transform_kernel_traitsILi256ELi14E14__hip_bfloat16EEv18HadamardParamsBase
	.globl	_Z30fast_hadamard_transform_kernelI37fast_hadamard_transform_kernel_traitsILi256ELi14E14__hip_bfloat16EEv18HadamardParamsBase
	.p2align	8
	.type	_Z30fast_hadamard_transform_kernelI37fast_hadamard_transform_kernel_traitsILi256ELi14E14__hip_bfloat16EEv18HadamardParamsBase,@function
_Z30fast_hadamard_transform_kernelI37fast_hadamard_transform_kernel_traitsILi256ELi14E14__hip_bfloat16EEv18HadamardParamsBase: ; @_Z30fast_hadamard_transform_kernelI37fast_hadamard_transform_kernel_traitsILi256ELi14E14__hip_bfloat16EEv18HadamardParamsBase
; %bb.0:
	s_load_dwordx4 s[28:31], s[4:5], 0x10
	s_load_dword s16, s[4:5], 0x4
	s_ashr_i32 s7, s6, 31
	s_load_dwordx4 s[36:39], s[4:5], 0x28
	s_load_dword s2, s[4:5], 0x44
	s_waitcnt lgkmcnt(0)
	s_mul_hi_u32 s0, s28, s6
	s_mul_i32 s1, s28, s7
	s_add_i32 s0, s0, s1
	s_mul_i32 s1, s29, s6
	s_add_i32 s1, s0, s1
	s_mul_i32 s0, s28, s6
	s_lshl_b64 s[0:1], s[0:1], 1
	s_add_u32 s14, s36, s0
	v_lshlrev_b32_e32 v1, 3, v0
	s_addc_u32 s15, s37, s1
	v_cmp_gt_u32_e32 vcc, s16, v1
	v_mov_b32_e32 v2, 0
	v_lshlrev_b32_e32 v70, 4, v0
	v_mov_b32_e32 v4, 0
	v_mov_b32_e32 v5, 0
	;; [unrolled: 1-line block ×8, first 2 shown]
	s_and_saveexec_b64 s[0:1], vcc
	s_cbranch_execz .LBB37_2
; %bb.1:
	global_load_dwordx4 v[10:13], v70, s[14:15]
	s_waitcnt vmcnt(0)
	v_lshlrev_b32_e32 v4, 16, v10
	v_lshlrev_b32_e32 v5, 16, v12
	v_and_b32_e32 v6, 0xffff0000, v10
	v_and_b32_e32 v7, 0xffff0000, v12
	v_lshlrev_b32_e32 v8, 16, v11
	v_lshlrev_b32_e32 v9, 16, v13
	v_and_b32_e32 v10, 0xffff0000, v11
	v_and_b32_e32 v11, 0xffff0000, v13
.LBB37_2:
	s_or_b64 exec, exec, s[0:1]
	s_and_b32 s17, 0xffff, s2
	v_add_u32_e32 v1, s17, v0
	v_lshlrev_b32_e32 v3, 3, v1
	v_cmp_gt_u32_e64 s[0:1], s16, v3
	v_lshlrev_b32_e32 v71, 4, v1
	v_mov_b32_e32 v3, 0
	v_mov_b32_e32 v12, 0
	v_mov_b32_e32 v13, 0
	v_mov_b32_e32 v14, 0
	v_mov_b32_e32 v15, 0
	v_mov_b32_e32 v16, 0
	v_mov_b32_e32 v17, 0
	s_and_saveexec_b64 s[2:3], s[0:1]
	s_cbranch_execz .LBB37_4
; %bb.3:
	global_load_dwordx4 v[16:19], v71, s[14:15]
	s_waitcnt vmcnt(0)
	v_lshlrev_b32_e32 v2, 16, v16
	v_lshlrev_b32_e32 v3, 16, v18
	v_and_b32_e32 v12, 0xffff0000, v16
	v_and_b32_e32 v13, 0xffff0000, v18
	v_lshlrev_b32_e32 v14, 16, v17
	v_lshlrev_b32_e32 v15, 16, v19
	v_and_b32_e32 v16, 0xffff0000, v17
	v_and_b32_e32 v17, 0xffff0000, v19
.LBB37_4:
	s_or_b64 exec, exec, s[2:3]
	v_add_u32_e32 v1, s17, v1
	v_lshlrev_b32_e32 v18, 3, v1
	v_cmp_gt_u32_e64 s[2:3], s16, v18
	v_mov_b32_e32 v18, 0
	v_lshlrev_b32_e32 v72, 4, v1
	v_mov_b32_e32 v20, 0
	v_mov_b32_e32 v21, 0
	v_mov_b32_e32 v22, 0
	v_mov_b32_e32 v23, 0
	v_mov_b32_e32 v24, 0
	v_mov_b32_e32 v25, 0
	v_mov_b32_e32 v26, 0
	v_mov_b32_e32 v27, 0
	s_and_saveexec_b64 s[8:9], s[2:3]
	s_cbranch_execz .LBB37_6
; %bb.5:
	global_load_dwordx4 v[26:29], v72, s[14:15]
	s_waitcnt vmcnt(0)
	v_lshlrev_b32_e32 v20, 16, v26
	v_lshlrev_b32_e32 v21, 16, v28
	v_and_b32_e32 v22, 0xffff0000, v26
	v_and_b32_e32 v23, 0xffff0000, v28
	v_lshlrev_b32_e32 v24, 16, v27
	v_lshlrev_b32_e32 v25, 16, v29
	v_and_b32_e32 v26, 0xffff0000, v27
	v_and_b32_e32 v27, 0xffff0000, v29
.LBB37_6:
	s_or_b64 exec, exec, s[8:9]
	v_add_u32_e32 v1, s17, v1
	v_lshlrev_b32_e32 v19, 3, v1
	v_cmp_gt_u32_e64 s[24:25], s16, v19
	v_lshlrev_b32_e32 v73, 4, v1
	v_mov_b32_e32 v19, 0
	v_mov_b32_e32 v28, 0
	v_mov_b32_e32 v29, 0
	v_mov_b32_e32 v30, 0
	v_mov_b32_e32 v31, 0
	v_mov_b32_e32 v32, 0
	v_mov_b32_e32 v33, 0
	s_and_saveexec_b64 s[8:9], s[24:25]
	s_cbranch_execz .LBB37_8
; %bb.7:
	global_load_dwordx4 v[32:35], v73, s[14:15]
	s_waitcnt vmcnt(0)
	v_lshlrev_b32_e32 v18, 16, v32
	v_lshlrev_b32_e32 v19, 16, v34
	v_and_b32_e32 v28, 0xffff0000, v32
	v_and_b32_e32 v29, 0xffff0000, v34
	v_lshlrev_b32_e32 v30, 16, v33
	v_lshlrev_b32_e32 v31, 16, v35
	v_and_b32_e32 v32, 0xffff0000, v33
	v_and_b32_e32 v33, 0xffff0000, v35
.LBB37_8:
	s_or_b64 exec, exec, s[8:9]
	v_add_u32_e32 v1, s17, v1
	v_lshlrev_b32_e32 v34, 3, v1
	v_cmp_gt_u32_e64 s[26:27], s16, v34
	v_mov_b32_e32 v34, 0
	v_lshlrev_b32_e32 v74, 4, v1
	v_mov_b32_e32 v36, 0
	v_mov_b32_e32 v37, 0
	v_mov_b32_e32 v38, 0
	v_mov_b32_e32 v39, 0
	v_mov_b32_e32 v40, 0
	v_mov_b32_e32 v41, 0
	v_mov_b32_e32 v42, 0
	v_mov_b32_e32 v43, 0
	s_and_saveexec_b64 s[8:9], s[26:27]
	s_cbranch_execz .LBB37_10
; %bb.9:
	global_load_dwordx4 v[42:45], v74, s[14:15]
	s_waitcnt vmcnt(0)
	v_lshlrev_b32_e32 v36, 16, v42
	v_lshlrev_b32_e32 v37, 16, v44
	v_and_b32_e32 v38, 0xffff0000, v42
	v_and_b32_e32 v39, 0xffff0000, v44
	v_lshlrev_b32_e32 v40, 16, v43
	v_lshlrev_b32_e32 v41, 16, v45
	v_and_b32_e32 v42, 0xffff0000, v43
	v_and_b32_e32 v43, 0xffff0000, v45
.LBB37_10:
	s_or_b64 exec, exec, s[8:9]
	;; [unrolled: 54-line block ×3, first 2 shown]
	s_load_dword s28, s[4:5], 0x20
	v_add_u32_e32 v1, s17, v1
	v_lshlrev_b32_e32 v50, 3, v1
	v_cmp_gt_u32_e64 s[12:13], s16, v50
	v_lshlrev_b32_e32 v77, 4, v1
	v_mov_b32_e32 v61, 0
	v_mov_b32_e32 v65, 0
	;; [unrolled: 1-line block ×7, first 2 shown]
	s_and_saveexec_b64 s[4:5], s[12:13]
	s_cbranch_execz .LBB37_16
; %bb.15:
	global_load_dwordx4 v[64:67], v77, s[14:15]
	s_waitcnt vmcnt(0)
	v_and_b32_e32 v62, 0xffff0000, v64
	v_lshlrev_b32_e32 v64, 16, v64
	v_and_b32_e32 v60, 0xffff0000, v65
	v_lshlrev_b32_e32 v50, 16, v65
	;; [unrolled: 2-line block ×4, first 2 shown]
.LBB37_16:
	s_or_b64 exec, exec, s[4:5]
	v_pk_add_f32 v[66:67], v[4:5], v[6:7]
	v_pk_add_f32 v[68:69], v[8:9], v[10:11]
	v_pk_add_f32 v[78:79], v[66:67], v[68:69]
	v_pk_add_f32 v[66:67], v[66:67], v[68:69] neg_lo:[0,1] neg_hi:[0,1]
	v_pk_add_f32 v[68:69], v[2:3], v[12:13]
	v_pk_add_f32 v[80:81], v[14:15], v[16:17]
	v_pk_add_f32 v[82:83], v[68:69], v[80:81]
	v_pk_add_f32 v[68:69], v[68:69], v[80:81] neg_lo:[0,1] neg_hi:[0,1]
	;; [unrolled: 4-line block ×6, first 2 shown]
	v_pk_add_f32 v[96:97], v[52:53], v[54:55]
	v_pk_add_f32 v[100:101], v[56:57], v[58:59]
	v_pk_add_f32 v[4:5], v[4:5], v[6:7] neg_lo:[0,1] neg_hi:[0,1]
	v_pk_add_f32 v[6:7], v[8:9], v[10:11] neg_lo:[0,1] neg_hi:[0,1]
	v_pk_add_f32 v[102:103], v[96:97], v[100:101]
	v_pk_add_f32 v[96:97], v[96:97], v[100:101] neg_lo:[0,1] neg_hi:[0,1]
	v_pk_add_f32 v[10:11], v[4:5], v[6:7]
	v_pk_add_f32 v[100:101], v[4:5], v[6:7] neg_lo:[0,1] neg_hi:[0,1]
	v_pk_add_f32 v[2:3], v[2:3], v[12:13] neg_lo:[0,1] neg_hi:[0,1]
	v_pk_add_f32 v[4:5], v[14:15], v[16:17] neg_lo:[0,1] neg_hi:[0,1]
	v_pk_add_f32 v[6:7], v[2:3], v[4:5]
	v_pk_add_f32 v[104:105], v[2:3], v[4:5] neg_lo:[0,1] neg_hi:[0,1]
	v_pk_add_f32 v[2:3], v[20:21], v[22:23] neg_lo:[0,1] neg_hi:[0,1]
	;; [unrolled: 4-line block ×7, first 2 shown]
	v_pk_add_f32 v[4:5], v[50:51], v[60:61] neg_lo:[0,1] neg_hi:[0,1]
	v_pk_add_f32 v[34:35], v[2:3], v[4:5]
	v_pk_add_f32 v[56:57], v[2:3], v[4:5] neg_lo:[0,1] neg_hi:[0,1]
	v_mov_b32_e32 v2, v79
	v_pk_add_f32 v[14:15], v[50:51], v[60:61]
	v_pk_add_f32 v[58:59], v[78:79], v[2:3]
	v_pk_add_f32 v[60:61], v[78:79], v[2:3] neg_lo:[0,1] neg_hi:[0,1]
	v_mov_b32_e32 v2, v83
	v_pk_add_f32 v[8:9], v[64:65], v[62:63]
	;; [unrolled: 4-line block ×3, first 2 shown]
	v_pk_add_f32 v[82:83], v[86:87], v[2:3] neg_lo:[0,1] neg_hi:[0,1]
	v_mov_b32_e32 v2, v91
	v_pk_add_f32 v[86:87], v[90:91], v[2:3]
	v_pk_add_f32 v[90:91], v[90:91], v[2:3] neg_lo:[0,1] neg_hi:[0,1]
	v_mov_b32_e32 v2, v95
	v_pk_add_f32 v[46:47], v[94:95], v[2:3]
	;; [unrolled: 3-line block ×3, first 2 shown]
	v_pk_add_f32 v[30:31], v[98:99], v[2:3]
	v_pk_add_f32 v[22:23], v[98:99], v[2:3] neg_lo:[0,1] neg_hi:[0,1]
	v_mov_b32_e32 v2, v103
	v_pk_add_f32 v[52:53], v[8:9], v[14:15] neg_lo:[0,1] neg_hi:[0,1]
	v_pk_add_f32 v[14:15], v[102:103], v[2:3]
	v_pk_add_f32 v[8:9], v[102:103], v[2:3] neg_lo:[0,1] neg_hi:[0,1]
	v_mov_b32_e32 v2, v33
	v_pk_add_f32 v[4:5], v[32:33], v[2:3]
	v_pk_add_f32 v[2:3], v[32:33], v[2:3] neg_lo:[0,1] neg_hi:[0,1]
	v_mov_b32_e32 v32, v11
	v_mbcnt_lo_u32_b32 v1, -1, 0
	v_pk_add_f32 v[94:95], v[10:11], v[32:33]
	v_pk_add_f32 v[98:99], v[10:11], v[32:33] neg_lo:[0,1] neg_hi:[0,1]
	v_mov_b32_e32 v10, v7
	v_mbcnt_hi_u32_b32 v1, -1, v1
	v_pk_add_f32 v[102:103], v[6:7], v[10:11]
	v_pk_add_f32 v[106:107], v[6:7], v[10:11] neg_lo:[0,1] neg_hi:[0,1]
	v_mov_b32_e32 v6, v13
	v_and_b32_e32 v3, 64, v1
	v_pk_add_f32 v[108:109], v[12:13], v[6:7]
	v_pk_add_f32 v[110:111], v[12:13], v[6:7] neg_lo:[0,1] neg_hi:[0,1]
	v_mov_b32_e32 v6, v17
	v_add_u32_e32 v3, 64, v3
	v_xor_b32_e32 v5, 1, v1
	v_pk_add_f32 v[112:113], v[16:17], v[6:7]
	v_pk_add_f32 v[114:115], v[16:17], v[6:7] neg_lo:[0,1] neg_hi:[0,1]
	v_mov_b32_e32 v6, v19
	v_cmp_lt_i32_e64 s[4:5], v5, v3
	v_pk_add_f32 v[116:117], v[18:19], v[6:7]
	v_pk_add_f32 v[48:49], v[18:19], v[6:7] neg_lo:[0,1] neg_hi:[0,1]
	v_mov_b32_e32 v6, v25
	v_mov_b32_e32 v12, v67
	v_cndmask_b32_e64 v5, v1, v5, s[4:5]
	v_pk_add_f32 v[40:41], v[24:25], v[6:7]
	v_pk_add_f32 v[32:33], v[24:25], v[6:7] neg_lo:[0,1] neg_hi:[0,1]
	v_mov_b32_e32 v6, v27
	v_pk_add_f32 v[118:119], v[66:67], v[12:13]
	v_pk_add_f32 v[120:121], v[66:67], v[12:13] neg_lo:[0,1] neg_hi:[0,1]
	v_lshlrev_b32_e32 v66, 2, v5
	v_pk_add_f32 v[24:25], v[26:27], v[6:7]
	v_pk_add_f32 v[16:17], v[26:27], v[6:7] neg_lo:[0,1] neg_hi:[0,1]
	v_mov_b32_e32 v6, v35
	ds_bpermute_b32 v5, v66, v58
	v_pk_add_f32 v[10:11], v[34:35], v[6:7]
	v_pk_add_f32 v[6:7], v[34:35], v[6:7] neg_lo:[0,1] neg_hi:[0,1]
	v_mov_b32_e32 v12, v69
	v_pk_add_f32 v[122:123], v[68:69], v[12:13]
	v_pk_add_f32 v[68:69], v[68:69], v[12:13] neg_lo:[0,1] neg_hi:[0,1]
	v_mov_b32_e32 v12, v81
	v_and_b32_e32 v7, 1, v0
	v_pk_add_f32 v[124:125], v[80:81], v[12:13]
	v_pk_add_f32 v[80:81], v[80:81], v[12:13] neg_lo:[0,1] neg_hi:[0,1]
	v_mov_b32_e32 v12, v85
	v_cmp_eq_u32_e64 s[14:15], 0, v7
	v_pk_add_f32 v[126:127], v[84:85], v[12:13]
	v_pk_add_f32 v[84:85], v[84:85], v[12:13] neg_lo:[0,1] neg_hi:[0,1]
	v_mov_b32_e32 v12, v89
	v_cndmask_b32_e64 v7, -v58, v58, s[14:15]
	v_pk_add_f32 v[128:129], v[88:89], v[12:13]
	v_pk_add_f32 v[88:89], v[88:89], v[12:13] neg_lo:[0,1] neg_hi:[0,1]
	v_mov_b32_e32 v12, v93
	s_waitcnt lgkmcnt(0)
	v_add_f32_e32 v5, v7, v5
	ds_bpermute_b32 v7, v66, v118
	v_pk_add_f32 v[50:51], v[92:93], v[12:13]
	v_pk_add_f32 v[42:43], v[92:93], v[12:13] neg_lo:[0,1] neg_hi:[0,1]
	v_mov_b32_e32 v12, v97
	v_pk_add_f32 v[34:35], v[96:97], v[12:13]
	v_pk_add_f32 v[26:27], v[96:97], v[12:13] neg_lo:[0,1] neg_hi:[0,1]
	v_mov_b32_e32 v12, v53
	v_pk_add_f32 v[18:19], v[52:53], v[12:13]
	v_pk_add_f32 v[12:13], v[52:53], v[12:13] neg_lo:[0,1] neg_hi:[0,1]
	ds_bpermute_b32 v9, v66, v94
	v_cndmask_b32_e64 v13, -v118, v118, s[14:15]
	v_mov_b32_e32 v52, v101
	s_waitcnt lgkmcnt(1)
	v_add_f32_e32 v7, v13, v7
	ds_bpermute_b32 v13, v66, v60
	v_pk_add_f32 v[92:93], v[100:101], v[52:53]
	v_pk_add_f32 v[96:97], v[100:101], v[52:53] neg_lo:[0,1] neg_hi:[0,1]
	v_mov_b32_e32 v52, v105
	v_pk_add_f32 v[100:101], v[104:105], v[52:53]
	v_pk_add_f32 v[104:105], v[104:105], v[52:53] neg_lo:[0,1] neg_hi:[0,1]
	v_mov_b32_e32 v52, v21
	;; [unrolled: 3-line block ×3, first 2 shown]
	v_cndmask_b32_e64 v11, -v94, v94, s[14:15]
	v_pk_add_f32 v[134:135], v[28:29], v[20:21]
	v_pk_add_f32 v[136:137], v[28:29], v[20:21] neg_lo:[0,1] neg_hi:[0,1]
	v_mov_b32_e32 v20, v37
	s_waitcnt lgkmcnt(1)
	v_add_f32_e32 v9, v11, v9
	ds_bpermute_b32 v11, v66, v92
	v_cndmask_b32_e64 v17, -v60, v60, s[14:15]
	v_pk_add_f32 v[138:139], v[36:37], v[20:21]
	v_pk_add_f32 v[140:141], v[36:37], v[20:21] neg_lo:[0,1] neg_hi:[0,1]
	v_mov_b32_e32 v20, v45
	s_waitcnt lgkmcnt(1)
	v_add_f32_e32 v13, v17, v13
	ds_bpermute_b32 v17, v66, v120
	v_pk_add_f32 v[142:143], v[44:45], v[20:21]
	v_pk_add_f32 v[52:53], v[44:45], v[20:21] neg_lo:[0,1] neg_hi:[0,1]
	v_mov_b32_e32 v20, v55
	v_pk_add_f32 v[44:45], v[54:55], v[20:21]
	v_pk_add_f32 v[36:37], v[54:55], v[20:21] neg_lo:[0,1] neg_hi:[0,1]
	v_mov_b32_e32 v20, v57
	v_pk_add_f32 v[28:29], v[56:57], v[20:21]
	v_pk_add_f32 v[20:21], v[56:57], v[20:21] neg_lo:[0,1] neg_hi:[0,1]
	v_cndmask_b32_e64 v15, -v92, v92, s[14:15]
	s_waitcnt lgkmcnt(1)
	v_add_f32_e32 v11, v15, v11
	ds_bpermute_b32 v15, v66, v98
	v_cndmask_b32_e64 v21, -v120, v120, s[14:15]
	s_waitcnt lgkmcnt(1)
	v_add_f32_e32 v17, v21, v17
	ds_bpermute_b32 v21, v66, v62
	;; [unrolled: 4-line block ×57, first 2 shown]
	v_cndmask_b32_e64 v12, -v12, v12, s[14:15]
	s_waitcnt lgkmcnt(1)
	v_add_f32_e32 v12, v12, v67
	v_xor_b32_e32 v67, 2, v1
	ds_bpermute_b32 v78, v66, v20
	v_cmp_lt_i32_e64 s[4:5], v67, v3
	v_cndmask_b32_e64 v67, v1, v67, s[4:5]
	v_cndmask_b32_e64 v6, -v6, v6, s[14:15]
	v_lshlrev_b32_e32 v67, 2, v67
	s_waitcnt lgkmcnt(1)
	v_add_f32_e32 v6, v6, v69
	ds_bpermute_b32 v69, v67, v5
	v_cndmask_b32_e64 v20, -v20, v20, s[14:15]
	s_waitcnt lgkmcnt(1)
	v_add_f32_e32 v20, v20, v78
	v_and_b32_e32 v78, 2, v0
	v_cmp_eq_u32_e64 s[16:17], 0, v78
	v_cndmask_b32_e64 v5, -v5, v5, s[16:17]
	s_waitcnt lgkmcnt(0)
	v_add_f32_e32 v5, v5, v69
	ds_bpermute_b32 v69, v67, v7
	ds_bpermute_b32 v78, v67, v11
	v_cndmask_b32_e64 v7, -v7, v7, s[16:17]
	v_cndmask_b32_e64 v11, -v11, v11, s[16:17]
	ds_bpermute_b32 v79, v67, v9
	s_waitcnt lgkmcnt(2)
	v_add_f32_e32 v7, v7, v69
	ds_bpermute_b32 v69, v67, v13
	s_waitcnt lgkmcnt(2)
	v_add_f32_e32 v11, v11, v78
	ds_bpermute_b32 v78, v67, v15
	v_cndmask_b32_e64 v13, -v13, v13, s[16:17]
	v_cndmask_b32_e64 v15, -v15, v15, s[16:17]
	s_waitcnt lgkmcnt(1)
	v_add_f32_e32 v13, v13, v69
	ds_bpermute_b32 v69, v67, v17
	s_waitcnt lgkmcnt(1)
	v_add_f32_e32 v15, v15, v78
	ds_bpermute_b32 v78, v67, v19
	v_cndmask_b32_e64 v17, -v17, v17, s[16:17]
	v_cndmask_b32_e64 v19, -v19, v19, s[16:17]
	;; [unrolled: 8-line block ×18, first 2 shown]
	s_waitcnt lgkmcnt(1)
	v_add_f32_e32 v64, v64, v33
	ds_bpermute_b32 v33, v67, v30
	v_cndmask_b32_e64 v9, -v9, v9, s[16:17]
	s_waitcnt lgkmcnt(1)
	v_add_f32_e32 v65, v65, v78
	ds_bpermute_b32 v78, v67, v40
	v_cndmask_b32_e64 v30, -v30, v30, s[16:17]
	v_add_f32_e32 v9, v9, v79
	s_waitcnt lgkmcnt(1)
	v_add_f32_e32 v79, v30, v33
	ds_bpermute_b32 v30, v67, v50
	v_cndmask_b32_e64 v33, -v40, v40, s[16:17]
	s_waitcnt lgkmcnt(1)
	v_add_f32_e32 v40, v33, v78
	ds_bpermute_b32 v33, v67, v68
	v_cndmask_b32_e64 v50, -v50, v50, s[16:17]
	;; [unrolled: 4-line block ×19, first 2 shown]
	s_waitcnt lgkmcnt(1)
	v_add_f32_e32 v91, v10, v8
	v_cndmask_b32_e64 v2, -v2, v2, s[16:17]
	ds_bpermute_b32 v8, v67, v6
	s_waitcnt lgkmcnt(1)
	v_add_f32_e32 v92, v2, v4
	ds_bpermute_b32 v2, v67, v12
	v_cndmask_b32_e64 v4, -v6, v6, s[16:17]
	ds_bpermute_b32 v6, v67, v20
	s_waitcnt lgkmcnt(2)
	v_add_f32_e32 v93, v4, v8
	v_cndmask_b32_e64 v4, -v12, v12, s[16:17]
	s_waitcnt lgkmcnt(1)
	v_add_f32_e32 v94, v4, v2
	v_cndmask_b32_e64 v2, -v20, v20, s[16:17]
	s_waitcnt lgkmcnt(0)
	v_add_f32_e32 v95, v2, v6
	v_xor_b32_e32 v2, 4, v1
	v_cmp_lt_i32_e64 s[4:5], v2, v3
	v_cndmask_b32_e64 v2, v1, v2, s[4:5]
	v_lshlrev_b32_e32 v96, 2, v2
	ds_bpermute_b32 v2, v96, v5
	ds_bpermute_b32 v6, v96, v9
	v_and_b32_e32 v4, 4, v0
	v_cmp_eq_u32_e64 s[4:5], 0, v4
	v_cndmask_b32_e64 v4, -v5, v5, s[4:5]
	s_waitcnt lgkmcnt(1)
	v_add_f32_e32 v97, v4, v2
	ds_bpermute_b32 v2, v96, v7
	v_cndmask_b32_e64 v4, -v9, v9, s[4:5]
	s_waitcnt lgkmcnt(1)
	v_add_f32_e32 v98, v4, v6
	ds_bpermute_b32 v4, v96, v11
	;; [unrolled: 4-line block ×26, first 2 shown]
	ds_bpermute_b32 v6, v96, v57
	ds_bpermute_b32 v7, v96, v58
	v_cndmask_b32_e64 v5, -v55, v55, s[4:5]
	s_waitcnt lgkmcnt(3)
	v_add_f32_e32 v2, v5, v2
	v_cndmask_b32_e64 v5, -v56, v56, s[4:5]
	s_waitcnt lgkmcnt(2)
	v_add_f32_e32 v5, v5, v4
	;; [unrolled: 3-line block ×3, first 2 shown]
	ds_bpermute_b32 v6, v96, v59
	v_cndmask_b32_e64 v8, -v58, v58, s[4:5]
	s_waitcnt lgkmcnt(1)
	v_add_f32_e32 v13, v8, v7
	ds_bpermute_b32 v7, v96, v60
	v_cndmask_b32_e64 v8, -v59, v59, s[4:5]
	s_waitcnt lgkmcnt(1)
	v_add_f32_e32 v15, v8, v6
	;; [unrolled: 4-line block ×5, first 2 shown]
	ds_bpermute_b32 v7, v96, v63
	ds_bpermute_b32 v9, v96, v38
	;; [unrolled: 1-line block ×3, first 2 shown]
	v_cndmask_b32_e64 v8, -v61, v61, s[4:5]
	ds_bpermute_b32 v11, v96, v64
	s_waitcnt lgkmcnt(4)
	v_add_f32_e32 v6, v8, v6
	v_cndmask_b32_e64 v8, -v63, v63, s[4:5]
	ds_bpermute_b32 v35, v96, v65
	s_waitcnt lgkmcnt(4)
	v_add_f32_e32 v8, v8, v7
	;; [unrolled: 4-line block ×3, first 2 shown]
	v_cndmask_b32_e64 v9, -v48, v48, s[4:5]
	s_waitcnt lgkmcnt(3)
	v_add_f32_e32 v9, v9, v10
	v_cndmask_b32_e64 v10, -v64, v64, s[4:5]
	s_waitcnt lgkmcnt(2)
	v_add_f32_e32 v10, v10, v11
	;; [unrolled: 3-line block ×3, first 2 shown]
	ds_bpermute_b32 v35, v96, v40
	v_cndmask_b32_e64 v38, -v79, v79, s[4:5]
	s_waitcnt lgkmcnt(1)
	v_add_f32_e32 v78, v38, v37
	ds_bpermute_b32 v37, v96, v50
	v_cndmask_b32_e64 v38, -v40, v40, s[4:5]
	s_waitcnt lgkmcnt(1)
	v_add_f32_e32 v65, v38, v35
	;; [unrolled: 4-line block ×20, first 2 shown]
	v_cndmask_b32_e64 v35, -v92, v92, s[4:5]
	ds_bpermute_b32 v37, v96, v93
	s_waitcnt lgkmcnt(1)
	v_add_f32_e32 v44, v35, v36
	ds_bpermute_b32 v35, v96, v94
	v_cndmask_b32_e64 v36, -v93, v93, s[4:5]
	ds_bpermute_b32 v38, v96, v95
	s_waitcnt lgkmcnt(2)
	v_add_f32_e32 v46, v36, v37
	v_cndmask_b32_e64 v36, -v94, v94, s[4:5]
	s_waitcnt lgkmcnt(1)
	v_add_f32_e32 v47, v36, v35
	v_xor_b32_e32 v36, 8, v1
	v_cndmask_b32_e64 v35, -v95, v95, s[4:5]
	v_cmp_lt_i32_e64 s[4:5], v36, v3
	v_cndmask_b32_e64 v36, v1, v36, s[4:5]
	v_lshlrev_b32_e32 v48, 2, v36
	ds_bpermute_b32 v36, v48, v97
	ds_bpermute_b32 v37, v48, v98
	;; [unrolled: 1-line block ×4, first 2 shown]
	s_waitcnt lgkmcnt(4)
	v_add_f32_e32 v42, v35, v38
	v_and_b32_e32 v35, 8, v0
	v_xor_b32_e32 v40, 16, v1
	v_cmp_eq_u32_e64 s[22:23], 0, v35
	v_cmp_lt_i32_e64 s[4:5], v40, v3
	v_cndmask_b32_e64 v38, -v97, v97, s[22:23]
	v_cndmask_b32_e64 v39, -v98, v98, s[22:23]
	v_cndmask_b32_e64 v40, v1, v40, s[4:5]
	v_cndmask_b32_e64 v80, -v99, v99, s[22:23]
	v_cndmask_b32_e64 v81, -v100, v100, s[22:23]
	v_lshlrev_b32_e32 v40, 2, v40
	s_waitcnt lgkmcnt(2)
	v_pk_add_f32 v[36:37], v[38:39], v[36:37]
	s_waitcnt lgkmcnt(0)
	v_pk_add_f32 v[68:69], v[80:81], v[68:69]
	ds_bpermute_b32 v38, v40, v36
	ds_bpermute_b32 v39, v40, v37
	;; [unrolled: 1-line block ×4, first 2 shown]
	v_and_b32_e32 v35, 16, v0
	v_cmp_eq_u32_e64 s[18:19], 0, v35
	v_xor_b32_e32 v35, 32, v1
	v_cmp_lt_i32_e64 s[4:5], v35, v3
	v_cndmask_b32_e64 v37, -v37, v37, s[18:19]
	v_cndmask_b32_e64 v36, -v36, v36, s[18:19]
	v_cndmask_b32_e64 v1, v1, v35, s[4:5]
	v_cndmask_b32_e64 v69, -v69, v69, s[18:19]
	v_cndmask_b32_e64 v68, -v68, v68, s[18:19]
	v_lshlrev_b32_e32 v41, 2, v1
	s_waitcnt lgkmcnt(2)
	v_pk_add_f32 v[36:37], v[36:37], v[38:39]
	s_waitcnt lgkmcnt(0)
	v_pk_add_f32 v[68:69], v[68:69], v[80:81]
	ds_bpermute_b32 v38, v41, v36
	ds_bpermute_b32 v39, v41, v37
	;; [unrolled: 1-line block ×4, first 2 shown]
	v_and_b32_e32 v79, 32, v0
	v_cmp_eq_u32_e64 s[20:21], 0, v79
	v_cndmask_b32_e64 v37, -v37, v37, s[20:21]
	v_cndmask_b32_e64 v36, -v36, v36, s[20:21]
	;; [unrolled: 1-line block ×4, first 2 shown]
	ds_bpermute_b32 v82, v48, v101
	ds_bpermute_b32 v83, v48, v102
	s_waitcnt lgkmcnt(4)
	v_pk_add_f32 v[36:37], v[36:37], v[38:39]
	s_waitcnt lgkmcnt(2)
	v_pk_add_f32 v[38:39], v[68:69], v[80:81]
	ds_bpermute_b32 v80, v48, v103
	ds_bpermute_b32 v81, v48, v104
	v_lshrrev_b32_e32 v1, 6, v0
	v_xor_b32_e32 v1, v1, v0
	v_cndmask_b32_e64 v84, -v101, v101, s[22:23]
	v_cndmask_b32_e64 v85, -v102, v102, s[22:23]
	;; [unrolled: 1-line block ×4, first 2 shown]
	v_lshl_add_u32 v68, v1, 4, 0
	s_waitcnt lgkmcnt(0)
	s_barrier
	ds_write_b128 v68, v[36:39]
	ds_bpermute_b32 v38, v48, v34
	v_cndmask_b32_e64 v88, -v34, v34, s[22:23]
	v_pk_add_f32 v[34:35], v[84:85], v[82:83]
	v_pk_add_f32 v[80:81], v[86:87], v[80:81]
	ds_bpermute_b32 v36, v40, v34
	ds_bpermute_b32 v37, v40, v35
	;; [unrolled: 1-line block ×4, first 2 shown]
	v_cndmask_b32_e64 v35, -v35, v35, s[18:19]
	v_cndmask_b32_e64 v34, -v34, v34, s[18:19]
	;; [unrolled: 1-line block ×4, first 2 shown]
	s_waitcnt lgkmcnt(2)
	v_pk_add_f32 v[34:35], v[34:35], v[36:37]
	s_waitcnt lgkmcnt(0)
	v_pk_add_f32 v[80:81], v[80:81], v[82:83]
	ds_bpermute_b32 v39, v48, v33
	ds_bpermute_b32 v36, v41, v34
	;; [unrolled: 1-line block ×5, first 2 shown]
	v_cndmask_b32_e64 v89, -v33, v33, s[22:23]
	v_cndmask_b32_e64 v35, -v35, v35, s[20:21]
	;; [unrolled: 1-line block ×5, first 2 shown]
	ds_bpermute_b32 v85, v48, v27
	v_cndmask_b32_e64 v87, -v27, v27, s[22:23]
	s_waitcnt lgkmcnt(3)
	v_pk_add_f32 v[34:35], v[34:35], v[36:37]
	s_waitcnt lgkmcnt(1)
	v_pk_add_f32 v[36:37], v[80:81], v[82:83]
	ds_bpermute_b32 v80, v48, v26
	v_cndmask_b32_e64 v82, -v26, v26, s[22:23]
	v_pk_add_f32 v[26:27], v[88:89], v[38:39]
	ds_bpermute_b32 v84, v48, v25
	ds_write_b128 v68, v[34:37] offset:4096
	ds_bpermute_b32 v34, v40, v26
	ds_bpermute_b32 v35, v40, v27
	v_cndmask_b32_e64 v86, -v25, v25, s[22:23]
	v_cndmask_b32_e64 v27, -v27, v27, s[18:19]
	;; [unrolled: 1-line block ×3, first 2 shown]
	ds_bpermute_b32 v81, v48, v29
	s_waitcnt lgkmcnt(1)
	v_pk_add_f32 v[26:27], v[26:27], v[34:35]
	v_pk_add_f32 v[34:35], v[86:87], v[84:85]
	ds_bpermute_b32 v36, v40, v34
	ds_bpermute_b32 v37, v40, v35
	v_cndmask_b32_e64 v35, -v35, v35, s[18:19]
	v_cndmask_b32_e64 v34, -v34, v34, s[18:19]
	;; [unrolled: 1-line block ×3, first 2 shown]
	ds_bpermute_b32 v90, v48, v31
	s_waitcnt lgkmcnt(1)
	v_pk_add_f32 v[34:35], v[34:35], v[36:37]
	v_cndmask_b32_e64 v92, -v31, v31, s[22:23]
	ds_bpermute_b32 v33, v48, v28
	v_cndmask_b32_e64 v31, -v28, v28, s[22:23]
	ds_bpermute_b32 v28, v41, v26
	ds_bpermute_b32 v29, v41, v27
	;; [unrolled: 1-line block ×4, first 2 shown]
	v_cndmask_b32_e64 v27, -v27, v27, s[20:21]
	v_cndmask_b32_e64 v26, -v26, v26, s[20:21]
	;; [unrolled: 1-line block ×4, first 2 shown]
	ds_bpermute_b32 v39, v48, v19
	v_cndmask_b32_e64 v85, -v19, v19, s[22:23]
	s_waitcnt lgkmcnt(3)
	v_pk_add_f32 v[26:27], v[26:27], v[28:29]
	s_waitcnt lgkmcnt(1)
	v_pk_add_f32 v[28:29], v[34:35], v[36:37]
	ds_bpermute_b32 v86, v48, v18
	v_cndmask_b32_e64 v88, -v18, v18, s[22:23]
	v_pk_add_f32 v[18:19], v[82:83], v[80:81]
	ds_bpermute_b32 v91, v48, v32
	ds_write_b128 v68, v[26:29] offset:8192
	ds_bpermute_b32 v26, v40, v18
	ds_bpermute_b32 v27, v40, v19
	v_cndmask_b32_e64 v93, -v32, v32, s[22:23]
	v_cndmask_b32_e64 v19, -v19, v19, s[18:19]
	;; [unrolled: 1-line block ×3, first 2 shown]
	ds_bpermute_b32 v32, v48, v30
	s_waitcnt lgkmcnt(1)
	v_pk_add_f32 v[18:19], v[18:19], v[26:27]
	v_pk_add_f32 v[26:27], v[92:93], v[90:91]
	ds_bpermute_b32 v28, v40, v26
	ds_bpermute_b32 v29, v40, v27
	v_cndmask_b32_e64 v27, -v27, v27, s[18:19]
	v_cndmask_b32_e64 v26, -v26, v26, s[18:19]
	ds_bpermute_b32 v87, v48, v21
	v_cndmask_b32_e64 v89, -v21, v21, s[22:23]
	s_waitcnt lgkmcnt(1)
	v_pk_add_f32 v[26:27], v[26:27], v[28:29]
	ds_bpermute_b32 v94, v48, v23
	v_cndmask_b32_e64 v96, -v23, v23, s[22:23]
	ds_bpermute_b32 v25, v48, v20
	v_cndmask_b32_e64 v23, -v20, v20, s[22:23]
	ds_bpermute_b32 v20, v41, v18
	ds_bpermute_b32 v21, v41, v19
	ds_bpermute_b32 v28, v41, v26
	ds_bpermute_b32 v29, v41, v27
	v_cndmask_b32_e64 v30, -v30, v30, s[22:23]
	v_cndmask_b32_e64 v19, -v19, v19, s[20:21]
	;; [unrolled: 1-line block ×5, first 2 shown]
	ds_bpermute_b32 v80, v48, v2
	v_cndmask_b32_e64 v82, -v2, v2, s[22:23]
	s_waitcnt lgkmcnt(3)
	v_pk_add_f32 v[18:19], v[18:19], v[20:21]
	s_waitcnt lgkmcnt(1)
	v_pk_add_f32 v[20:21], v[26:27], v[28:29]
	ds_bpermute_b32 v26, v48, v4
	v_cndmask_b32_e64 v28, -v4, v4, s[22:23]
	ds_bpermute_b32 v90, v48, v15
	v_cndmask_b32_e64 v92, -v15, v15, s[22:23]
	ds_bpermute_b32 v2, v48, v14
	v_cndmask_b32_e64 v4, -v14, v14, s[22:23]
	v_pk_add_f32 v[14:15], v[30:31], v[32:33]
	ds_bpermute_b32 v38, v48, v17
	v_cndmask_b32_e64 v84, -v17, v17, s[22:23]
	ds_bpermute_b32 v91, v48, v16
	v_cndmask_b32_e64 v93, -v16, v16, s[22:23]
	ds_bpermute_b32 v16, v40, v14
	ds_bpermute_b32 v17, v40, v15
	v_and_b32_e32 v1, 3, v0
	v_lshrrev_b32_e32 v0, 2, v0
	ds_bpermute_b32 v81, v48, v5
	v_cndmask_b32_e64 v83, -v5, v5, s[22:23]
	ds_bpermute_b32 v27, v48, v13
	v_cndmask_b32_e64 v29, -v13, v13, s[22:23]
	;; [unrolled: 2-line block ×3, first 2 shown]
	v_cndmask_b32_e64 v13, -v15, v15, s[18:19]
	v_cndmask_b32_e64 v12, -v14, v14, s[18:19]
	v_lshl_or_b32 v0, v1, 6, v0
	s_waitcnt lgkmcnt(3)
	v_pk_add_f32 v[12:13], v[12:13], v[16:17]
	v_pk_add_f32 v[16:17], v[84:85], v[38:39]
	ds_bpermute_b32 v85, v48, v8
	v_cndmask_b32_e64 v99, -v8, v8, s[22:23]
	v_xor_b32_e32 v8, v0, v1
	v_pk_add_f32 v[0:1], v[88:89], v[86:87]
	ds_bpermute_b32 v84, v48, v6
	v_cndmask_b32_e64 v98, -v6, v6, s[22:23]
	ds_bpermute_b32 v36, v48, v7
	v_cndmask_b32_e64 v38, -v7, v7, s[22:23]
	ds_bpermute_b32 v6, v40, v0
	ds_bpermute_b32 v7, v40, v1
	;; [unrolled: 1-line block ×3, first 2 shown]
	ds_write_b128 v68, v[18:21] offset:12288
	ds_bpermute_b32 v18, v40, v16
	ds_bpermute_b32 v19, v40, v17
	v_cndmask_b32_e64 v1, -v1, v1, s[18:19]
	v_cndmask_b32_e64 v0, -v0, v0, s[18:19]
	;; [unrolled: 1-line block ×3, first 2 shown]
	s_waitcnt lgkmcnt(4)
	v_pk_add_f32 v[0:1], v[0:1], v[6:7]
	v_cndmask_b32_e64 v17, -v17, v17, s[18:19]
	v_cndmask_b32_e64 v16, -v16, v16, s[18:19]
	ds_bpermute_b32 v37, v48, v9
	v_cndmask_b32_e64 v39, -v9, v9, s[22:23]
	v_lshl_add_u32 v69, v8, 4, 0
	ds_bpermute_b32 v6, v41, v0
	ds_bpermute_b32 v7, v41, v1
	s_waitcnt lgkmcnt(6)
	v_pk_add_f32 v[8:9], v[96:97], v[94:95]
	s_waitcnt lgkmcnt(3)
	v_pk_add_f32 v[16:17], v[16:17], v[18:19]
	ds_bpermute_b32 v32, v48, v10
	v_cndmask_b32_e64 v34, -v10, v10, s[22:23]
	ds_bpermute_b32 v33, v48, v11
	v_cndmask_b32_e64 v35, -v11, v11, s[22:23]
	ds_bpermute_b32 v10, v40, v8
	ds_bpermute_b32 v11, v40, v9
	ds_bpermute_b32 v24, v48, v22
	ds_bpermute_b32 v14, v41, v12
	ds_bpermute_b32 v15, v41, v13
	ds_bpermute_b32 v18, v41, v16
	ds_bpermute_b32 v19, v41, v17
	v_cndmask_b32_e64 v1, -v1, v1, s[20:21]
	v_cndmask_b32_e64 v0, -v0, v0, s[20:21]
	s_waitcnt lgkmcnt(9)
	v_pk_add_f32 v[6:7], v[0:1], v[6:7]
	v_cndmask_b32_e64 v1, -v9, v9, s[18:19]
	v_cndmask_b32_e64 v0, -v8, v8, s[18:19]
	;; [unrolled: 1-line block ×7, first 2 shown]
	s_waitcnt lgkmcnt(5)
	v_pk_add_f32 v[0:1], v[0:1], v[10:11]
	s_waitcnt lgkmcnt(2)
	v_pk_add_f32 v[12:13], v[12:13], v[14:15]
	;; [unrolled: 2-line block ×3, first 2 shown]
	ds_bpermute_b32 v8, v41, v0
	ds_bpermute_b32 v9, v41, v1
	v_pk_add_f32 v[10:11], v[22:23], v[24:25]
	ds_write_b128 v68, v[12:15] offset:16384
	ds_bpermute_b32 v12, v40, v10
	ds_bpermute_b32 v13, v40, v11
	v_cndmask_b32_e64 v1, -v1, v1, s[20:21]
	v_cndmask_b32_e64 v0, -v0, v0, s[20:21]
	s_waitcnt lgkmcnt(3)
	v_pk_add_f32 v[8:9], v[0:1], v[8:9]
	v_cndmask_b32_e64 v1, -v11, v11, s[18:19]
	v_cndmask_b32_e64 v0, -v10, v10, s[18:19]
	s_waitcnt lgkmcnt(0)
	v_pk_add_f32 v[0:1], v[0:1], v[12:13]
	ds_write_b128 v68, v[6:9] offset:20480
	ds_bpermute_b32 v6, v41, v0
	ds_bpermute_b32 v7, v41, v1
	v_pk_add_f32 v[8:9], v[82:83], v[80:81]
	ds_bpermute_b32 v10, v40, v8
	ds_bpermute_b32 v11, v40, v9
	v_cndmask_b32_e64 v1, -v1, v1, s[20:21]
	v_cndmask_b32_e64 v0, -v0, v0, s[20:21]
	s_waitcnt lgkmcnt(2)
	v_pk_add_f32 v[6:7], v[0:1], v[6:7]
	v_cndmask_b32_e64 v1, -v9, v9, s[18:19]
	v_cndmask_b32_e64 v0, -v8, v8, s[18:19]
	s_waitcnt lgkmcnt(0)
	v_pk_add_f32 v[0:1], v[0:1], v[10:11]
	ds_bpermute_b32 v8, v41, v0
	ds_bpermute_b32 v9, v41, v1
	v_cndmask_b32_e64 v1, -v1, v1, s[20:21]
	v_cndmask_b32_e64 v0, -v0, v0, s[20:21]
	v_pk_add_f32 v[10:11], v[28:29], v[26:27]
	ds_bpermute_b32 v12, v40, v10
	s_waitcnt lgkmcnt(1)
	v_pk_add_f32 v[8:9], v[0:1], v[8:9]
	ds_bpermute_b32 v13, v40, v11
	ds_write_b128 v68, v[6:9] offset:24576
	v_pk_add_f32 v[8:9], v[92:93], v[90:91]
	v_cndmask_b32_e64 v1, -v11, v11, s[18:19]
	v_cndmask_b32_e64 v0, -v10, v10, s[18:19]
	ds_bpermute_b32 v10, v40, v8
	ds_bpermute_b32 v11, v40, v9
	s_waitcnt lgkmcnt(3)
	v_pk_add_f32 v[0:1], v[0:1], v[12:13]
	v_cndmask_b32_e64 v9, -v9, v9, s[18:19]
	v_cndmask_b32_e64 v8, -v8, v8, s[18:19]
	ds_bpermute_b32 v6, v41, v0
	ds_bpermute_b32 v7, v41, v1
	s_waitcnt lgkmcnt(2)
	v_pk_add_f32 v[8:9], v[8:9], v[10:11]
	ds_bpermute_b32 v10, v41, v8
	ds_bpermute_b32 v11, v41, v9
	v_cndmask_b32_e64 v1, -v1, v1, s[20:21]
	v_cndmask_b32_e64 v0, -v0, v0, s[20:21]
	s_waitcnt lgkmcnt(2)
	v_pk_add_f32 v[6:7], v[0:1], v[6:7]
	v_cndmask_b32_e64 v1, -v9, v9, s[20:21]
	v_cndmask_b32_e64 v0, -v8, v8, s[20:21]
	s_waitcnt lgkmcnt(0)
	v_pk_add_f32 v[8:9], v[0:1], v[10:11]
	v_pk_add_f32 v[0:1], v[4:5], v[2:3]
	ds_write_b128 v68, v[6:9] offset:28672
	ds_bpermute_b32 v2, v40, v0
	ds_bpermute_b32 v3, v40, v1
	v_pk_add_f32 v[8:9], v[98:99], v[84:85]
	ds_bpermute_b32 v10, v40, v8
	ds_bpermute_b32 v11, v40, v9
	v_cndmask_b32_e64 v1, -v1, v1, s[18:19]
	v_cndmask_b32_e64 v0, -v0, v0, s[18:19]
	s_waitcnt lgkmcnt(2)
	v_pk_add_f32 v[0:1], v[0:1], v[2:3]
	v_cndmask_b32_e64 v9, -v9, v9, s[18:19]
	v_cndmask_b32_e64 v8, -v8, v8, s[18:19]
	v_pk_add_f32 v[36:37], v[38:39], v[36:37]
	v_pk_add_f32 v[32:33], v[34:35], v[32:33]
	ds_bpermute_b32 v2, v41, v0
	ds_bpermute_b32 v3, v41, v1
	s_waitcnt lgkmcnt(2)
	v_pk_add_f32 v[8:9], v[8:9], v[10:11]
	ds_bpermute_b32 v38, v40, v36
	ds_bpermute_b32 v39, v40, v37
	;; [unrolled: 1-line block ×6, first 2 shown]
	v_cndmask_b32_e64 v1, -v1, v1, s[20:21]
	v_cndmask_b32_e64 v0, -v0, v0, s[20:21]
	;; [unrolled: 1-line block ×6, first 2 shown]
	s_waitcnt lgkmcnt(6)
	v_pk_add_f32 v[80:81], v[0:1], v[2:3]
	v_cndmask_b32_e64 v1, -v9, v9, s[20:21]
	v_cndmask_b32_e64 v0, -v8, v8, s[20:21]
	s_waitcnt lgkmcnt(4)
	v_pk_add_f32 v[36:37], v[36:37], v[38:39]
	s_waitcnt lgkmcnt(2)
	v_pk_add_f32 v[32:33], v[32:33], v[34:35]
	;; [unrolled: 2-line block ×3, first 2 shown]
	ds_bpermute_b32 v38, v41, v36
	ds_bpermute_b32 v39, v41, v37
	;; [unrolled: 1-line block ×4, first 2 shown]
	s_waitcnt lgkmcnt(0)
	s_barrier
	ds_read_b128 v[28:31], v69
	ds_read_b128 v[24:27], v69 offset:4096
	ds_read_b128 v[20:23], v69 offset:8192
	;; [unrolled: 1-line block ×7, first 2 shown]
	s_waitcnt lgkmcnt(0)
	s_barrier
	ds_write_b128 v68, v[80:83]
	ds_bpermute_b32 v80, v48, v78
	ds_bpermute_b32 v81, v48, v65
	;; [unrolled: 1-line block ×4, first 2 shown]
	v_cndmask_b32_e64 v37, -v37, v37, s[20:21]
	v_cndmask_b32_e64 v36, -v36, v36, s[20:21]
	;; [unrolled: 1-line block ×8, first 2 shown]
	v_pk_add_f32 v[32:33], v[36:37], v[38:39]
	v_pk_add_f32 v[34:35], v[82:83], v[34:35]
	ds_bpermute_b32 v36, v48, v58
	v_cndmask_b32_e64 v38, -v58, v58, s[22:23]
	ds_bpermute_b32 v37, v48, v61
	v_cndmask_b32_e64 v39, -v61, v61, s[22:23]
	;; [unrolled: 2-line block ×3, first 2 shown]
	ds_write_b128 v68, v[32:35] offset:4096
	s_waitcnt lgkmcnt(6)
	v_pk_add_f32 v[32:33], v[78:79], v[80:81]
	ds_bpermute_b32 v65, v48, v60
	v_cndmask_b32_e64 v63, -v60, v60, s[22:23]
	s_waitcnt lgkmcnt(5)
	v_pk_add_f32 v[60:61], v[86:87], v[84:85]
	ds_bpermute_b32 v34, v40, v32
	ds_bpermute_b32 v35, v40, v33
	;; [unrolled: 1-line block ×4, first 2 shown]
	v_cndmask_b32_e64 v33, -v33, v33, s[18:19]
	v_cndmask_b32_e64 v32, -v32, v32, s[18:19]
	;; [unrolled: 1-line block ×4, first 2 shown]
	s_waitcnt lgkmcnt(2)
	v_pk_add_f32 v[32:33], v[32:33], v[34:35]
	s_waitcnt lgkmcnt(0)
	v_pk_add_f32 v[60:61], v[60:61], v[78:79]
	ds_bpermute_b32 v34, v41, v32
	ds_bpermute_b32 v35, v41, v33
	;; [unrolled: 1-line block ×5, first 2 shown]
	v_cndmask_b32_e64 v33, -v33, v33, s[20:21]
	v_cndmask_b32_e64 v32, -v32, v32, s[20:21]
	;; [unrolled: 1-line block ×5, first 2 shown]
	s_waitcnt lgkmcnt(3)
	v_pk_add_f32 v[32:33], v[32:33], v[34:35]
	s_waitcnt lgkmcnt(1)
	v_pk_add_f32 v[34:35], v[60:61], v[78:79]
	ds_write_b128 v68, v[32:35] offset:8192
	v_pk_add_f32 v[32:33], v[38:39], v[36:37]
	s_waitcnt lgkmcnt(1)
	v_pk_add_f32 v[36:37], v[82:83], v[58:59]
	ds_bpermute_b32 v34, v40, v32
	ds_bpermute_b32 v35, v40, v33
	;; [unrolled: 1-line block ×4, first 2 shown]
	v_cndmask_b32_e64 v33, -v33, v33, s[18:19]
	v_cndmask_b32_e64 v32, -v32, v32, s[18:19]
	v_cndmask_b32_e64 v37, -v37, v37, s[18:19]
	v_cndmask_b32_e64 v36, -v36, v36, s[18:19]
	s_waitcnt lgkmcnt(2)
	v_pk_add_f32 v[32:33], v[32:33], v[34:35]
	s_waitcnt lgkmcnt(0)
	v_pk_add_f32 v[36:37], v[36:37], v[38:39]
	ds_bpermute_b32 v64, v48, v62
	ds_bpermute_b32 v34, v41, v32
	;; [unrolled: 1-line block ×5, first 2 shown]
	v_cndmask_b32_e64 v62, -v62, v62, s[22:23]
	v_cndmask_b32_e64 v33, -v33, v33, s[20:21]
	;; [unrolled: 1-line block ×5, first 2 shown]
	ds_bpermute_b32 v80, v48, v49
	v_cndmask_b32_e64 v84, -v49, v49, s[22:23]
	ds_bpermute_b32 v81, v48, v51
	v_cndmask_b32_e64 v85, -v51, v51, s[22:23]
	ds_bpermute_b32 v60, v48, v50
	ds_bpermute_b32 v61, v48, v53
	v_cndmask_b32_e64 v51, -v53, v53, s[22:23]
	ds_bpermute_b32 v78, v48, v55
	v_cndmask_b32_e64 v86, -v55, v55, s[22:23]
	;; [unrolled: 2-line block ×3, first 2 shown]
	ds_bpermute_b32 v56, v48, v54
	ds_bpermute_b32 v57, v48, v52
	v_cndmask_b32_e64 v55, -v52, v52, s[22:23]
	ds_bpermute_b32 v52, v48, v43
	ds_bpermute_b32 v53, v48, v45
	v_cndmask_b32_e64 v59, -v45, v45, s[22:23]
	s_waitcnt lgkmcnt(12)
	v_pk_add_f32 v[32:33], v[32:33], v[34:35]
	s_waitcnt lgkmcnt(10)
	v_pk_add_f32 v[34:35], v[36:37], v[38:39]
	ds_bpermute_b32 v36, v48, v44
	v_cndmask_b32_e64 v38, -v44, v44, s[22:23]
	ds_bpermute_b32 v37, v48, v46
	ds_bpermute_b32 v44, v48, v47
	;; [unrolled: 1-line block ×3, first 2 shown]
	v_pk_add_f32 v[48:49], v[62:63], v[64:65]
	ds_bpermute_b32 v62, v40, v48
	ds_bpermute_b32 v63, v40, v49
	ds_write_b128 v68, v[32:35] offset:12288
	v_cndmask_b32_e64 v33, -v49, v49, s[18:19]
	v_cndmask_b32_e64 v32, -v48, v48, s[18:19]
	;; [unrolled: 1-line block ×3, first 2 shown]
	s_waitcnt lgkmcnt(1)
	v_pk_add_f32 v[32:33], v[32:33], v[62:63]
	v_cndmask_b32_e64 v39, -v46, v46, s[22:23]
	v_cndmask_b32_e64 v46, -v47, v47, s[22:23]
	;; [unrolled: 1-line block ×3, first 2 shown]
	ds_bpermute_b32 v34, v41, v32
	ds_bpermute_b32 v35, v41, v33
	v_pk_add_f32 v[42:43], v[84:85], v[80:81]
	ds_bpermute_b32 v48, v40, v42
	ds_bpermute_b32 v49, v40, v43
	v_cndmask_b32_e64 v33, -v33, v33, s[20:21]
	v_cndmask_b32_e64 v32, -v32, v32, s[20:21]
	s_waitcnt lgkmcnt(2)
	v_pk_add_f32 v[32:33], v[32:33], v[34:35]
	v_cndmask_b32_e64 v35, -v43, v43, s[18:19]
	v_cndmask_b32_e64 v34, -v42, v42, s[18:19]
	s_waitcnt lgkmcnt(0)
	v_pk_add_f32 v[34:35], v[34:35], v[48:49]
	v_cndmask_b32_e64 v50, -v50, v50, s[22:23]
	ds_bpermute_b32 v42, v41, v34
	ds_bpermute_b32 v43, v41, v35
	v_pk_add_f32 v[48:49], v[50:51], v[60:61]
	ds_bpermute_b32 v50, v40, v48
	ds_bpermute_b32 v51, v40, v49
	v_cndmask_b32_e64 v35, -v35, v35, s[20:21]
	v_cndmask_b32_e64 v34, -v34, v34, s[20:21]
	s_waitcnt lgkmcnt(2)
	v_pk_add_f32 v[34:35], v[34:35], v[42:43]
	ds_write_b128 v68, v[32:35] offset:16384
	v_cndmask_b32_e64 v33, -v49, v49, s[18:19]
	v_cndmask_b32_e64 v32, -v48, v48, s[18:19]
	s_waitcnt lgkmcnt(1)
	v_pk_add_f32 v[32:33], v[32:33], v[50:51]
	ds_bpermute_b32 v34, v41, v32
	ds_bpermute_b32 v35, v41, v33
	v_pk_add_f32 v[42:43], v[86:87], v[78:79]
	ds_bpermute_b32 v48, v40, v42
	ds_bpermute_b32 v49, v40, v43
	v_cndmask_b32_e64 v33, -v33, v33, s[20:21]
	v_cndmask_b32_e64 v32, -v32, v32, s[20:21]
	s_waitcnt lgkmcnt(2)
	v_pk_add_f32 v[32:33], v[32:33], v[34:35]
	v_cndmask_b32_e64 v35, -v43, v43, s[18:19]
	v_cndmask_b32_e64 v34, -v42, v42, s[18:19]
	s_waitcnt lgkmcnt(0)
	v_pk_add_f32 v[34:35], v[34:35], v[48:49]
	v_cndmask_b32_e64 v54, -v54, v54, s[22:23]
	ds_bpermute_b32 v42, v41, v34
	ds_bpermute_b32 v43, v41, v35
	v_pk_add_f32 v[48:49], v[54:55], v[56:57]
	ds_bpermute_b32 v50, v40, v48
	ds_bpermute_b32 v51, v40, v49
	v_cndmask_b32_e64 v35, -v35, v35, s[20:21]
	v_cndmask_b32_e64 v34, -v34, v34, s[20:21]
	s_waitcnt lgkmcnt(2)
	v_pk_add_f32 v[34:35], v[34:35], v[42:43]
	ds_write_b128 v68, v[32:35] offset:20480
	v_cndmask_b32_e64 v33, -v49, v49, s[18:19]
	v_cndmask_b32_e64 v32, -v48, v48, s[18:19]
	s_waitcnt lgkmcnt(1)
	v_pk_add_f32 v[32:33], v[32:33], v[50:51]
	ds_bpermute_b32 v34, v41, v32
	ds_bpermute_b32 v35, v41, v33
	v_pk_add_f32 v[42:43], v[58:59], v[52:53]
	ds_bpermute_b32 v48, v40, v42
	ds_bpermute_b32 v49, v40, v43
	v_cndmask_b32_e64 v33, -v33, v33, s[20:21]
	v_cndmask_b32_e64 v32, -v32, v32, s[20:21]
	s_waitcnt lgkmcnt(2)
	v_pk_add_f32 v[32:33], v[32:33], v[34:35]
	v_cndmask_b32_e64 v35, -v43, v43, s[18:19]
	v_cndmask_b32_e64 v34, -v42, v42, s[18:19]
	s_waitcnt lgkmcnt(0)
	v_pk_add_f32 v[34:35], v[34:35], v[48:49]
	ds_bpermute_b32 v42, v41, v34
	ds_bpermute_b32 v43, v41, v35
	v_pk_add_f32 v[36:37], v[38:39], v[36:37]
	ds_bpermute_b32 v38, v40, v36
	ds_bpermute_b32 v39, v40, v37
	v_cndmask_b32_e64 v35, -v35, v35, s[20:21]
	v_cndmask_b32_e64 v34, -v34, v34, s[20:21]
	s_waitcnt lgkmcnt(2)
	v_pk_add_f32 v[34:35], v[34:35], v[42:43]
	ds_write_b128 v68, v[32:35] offset:24576
	v_cndmask_b32_e64 v33, -v37, v37, s[18:19]
	v_cndmask_b32_e64 v32, -v36, v36, s[18:19]
	v_pk_add_f32 v[36:37], v[46:47], v[44:45]
	s_waitcnt lgkmcnt(1)
	v_pk_add_f32 v[32:33], v[32:33], v[38:39]
	ds_bpermute_b32 v38, v40, v36
	ds_bpermute_b32 v39, v40, v37
	;; [unrolled: 1-line block ×6, first 2 shown]
	v_cndmask_b32_e64 v37, -v37, v37, s[18:19]
	v_cndmask_b32_e64 v36, -v36, v36, s[18:19]
	;; [unrolled: 1-line block ×6, first 2 shown]
	ds_bpermute_b32 v34, v41, v32
	ds_bpermute_b32 v35, v41, v33
	s_waitcnt lgkmcnt(6)
	v_pk_add_f32 v[36:37], v[36:37], v[38:39]
	s_waitcnt lgkmcnt(2)
	v_pk_add_f32 v[30:31], v[30:31], v[78:79]
	v_pk_add_f32 v[28:29], v[28:29], v[64:65]
	ds_bpermute_b32 v38, v41, v36
	ds_bpermute_b32 v39, v41, v37
	;; [unrolled: 1-line block ×10, first 2 shown]
	v_cndmask_b32_e64 v33, -v33, v33, s[20:21]
	v_cndmask_b32_e64 v32, -v32, v32, s[20:21]
	s_waitcnt lgkmcnt(10)
	v_pk_add_f32 v[32:33], v[32:33], v[34:35]
	v_cndmask_b32_e64 v35, -v37, v37, s[20:21]
	v_cndmask_b32_e64 v34, -v36, v36, s[20:21]
	;; [unrolled: 1-line block ×10, first 2 shown]
	s_waitcnt lgkmcnt(8)
	v_pk_add_f32 v[34:35], v[34:35], v[38:39]
	s_waitcnt lgkmcnt(2)
	v_pk_add_f32 v[30:31], v[30:31], v[78:79]
	v_pk_add_f32 v[28:29], v[28:29], v[64:65]
	s_waitcnt lgkmcnt(0)
	v_pk_add_f32 v[26:27], v[26:27], v[82:83]
	v_pk_add_f32 v[24:25], v[24:25], v[80:81]
	ds_write_b128 v68, v[32:35] offset:28672
	s_waitcnt lgkmcnt(0)
	s_barrier
	ds_read_b128 v[60:63], v69
	ds_read_b128 v[56:59], v69 offset:4096
	ds_read_b128 v[52:55], v69 offset:8192
	;; [unrolled: 1-line block ×7, first 2 shown]
	ds_bpermute_b32 v64, v66, v20
	ds_bpermute_b32 v65, v66, v21
	;; [unrolled: 1-line block ×4, first 2 shown]
	s_waitcnt lgkmcnt(0)
	s_barrier
	ds_write_b128 v69, v[28:31]
	ds_bpermute_b32 v30, v67, v24
	ds_bpermute_b32 v31, v67, v25
	ds_bpermute_b32 v80, v67, v26
	ds_bpermute_b32 v81, v67, v27
	v_cndmask_b32_e64 v25, -v25, v25, s[16:17]
	v_cndmask_b32_e64 v24, -v24, v24, s[16:17]
	v_cndmask_b32_e64 v27, -v27, v27, s[16:17]
	v_cndmask_b32_e64 v26, -v26, v26, s[16:17]
	v_cndmask_b32_e64 v21, -v21, v21, s[14:15]
	v_cndmask_b32_e64 v20, -v20, v20, s[14:15]
	v_cndmask_b32_e64 v23, -v23, v23, s[14:15]
	v_cndmask_b32_e64 v22, -v22, v22, s[14:15]
	s_waitcnt lgkmcnt(0)
	v_pk_add_f32 v[26:27], v[26:27], v[80:81]
	v_pk_add_f32 v[24:25], v[24:25], v[30:31]
	v_pk_add_f32 v[22:23], v[22:23], v[78:79]
	v_pk_add_f32 v[20:21], v[20:21], v[64:65]
	ds_bpermute_b32 v28, v66, v16
	ds_bpermute_b32 v29, v66, v17
	ds_bpermute_b32 v82, v66, v18
	ds_bpermute_b32 v83, v66, v19
	ds_write_b128 v69, v[24:27] offset:4096
	ds_bpermute_b32 v26, v67, v20
	ds_bpermute_b32 v27, v67, v21
	ds_bpermute_b32 v64, v67, v22
	ds_bpermute_b32 v65, v67, v23
	v_cndmask_b32_e64 v21, -v21, v21, s[16:17]
	v_cndmask_b32_e64 v20, -v20, v20, s[16:17]
	v_cndmask_b32_e64 v23, -v23, v23, s[16:17]
	v_cndmask_b32_e64 v22, -v22, v22, s[16:17]
	v_cndmask_b32_e64 v17, -v17, v17, s[14:15]
	v_cndmask_b32_e64 v16, -v16, v16, s[14:15]
	v_cndmask_b32_e64 v19, -v19, v19, s[14:15]
	v_cndmask_b32_e64 v18, -v18, v18, s[14:15]
	s_waitcnt lgkmcnt(0)
	v_pk_add_f32 v[22:23], v[22:23], v[64:65]
	v_pk_add_f32 v[20:21], v[20:21], v[26:27]
	v_pk_add_f32 v[18:19], v[18:19], v[82:83]
	v_pk_add_f32 v[16:17], v[16:17], v[28:29]
	ds_bpermute_b32 v30, v66, v12
	ds_bpermute_b32 v31, v66, v13
	ds_bpermute_b32 v80, v66, v14
	ds_bpermute_b32 v81, v66, v15
	ds_write_b128 v69, v[20:23] offset:8192
	ds_bpermute_b32 v22, v67, v16
	ds_bpermute_b32 v23, v67, v17
	ds_bpermute_b32 v28, v67, v18
	ds_bpermute_b32 v29, v67, v19
	v_cndmask_b32_e64 v17, -v17, v17, s[16:17]
	v_cndmask_b32_e64 v16, -v16, v16, s[16:17]
	v_cndmask_b32_e64 v19, -v19, v19, s[16:17]
	v_cndmask_b32_e64 v18, -v18, v18, s[16:17]
	v_cndmask_b32_e64 v13, -v13, v13, s[14:15]
	v_cndmask_b32_e64 v12, -v12, v12, s[14:15]
	v_cndmask_b32_e64 v15, -v15, v15, s[14:15]
	v_cndmask_b32_e64 v14, -v14, v14, s[14:15]
	s_waitcnt lgkmcnt(0)
	v_pk_add_f32 v[18:19], v[18:19], v[28:29]
	v_pk_add_f32 v[16:17], v[16:17], v[22:23]
	v_pk_add_f32 v[14:15], v[14:15], v[80:81]
	v_pk_add_f32 v[12:13], v[12:13], v[30:31]
	ds_bpermute_b32 v24, v66, v4
	ds_bpermute_b32 v25, v66, v5
	ds_bpermute_b32 v78, v66, v6
	ds_bpermute_b32 v79, v66, v7
	ds_write_b128 v69, v[16:19] offset:12288
	ds_bpermute_b32 v16, v67, v12
	ds_bpermute_b32 v17, v67, v13
	;; [unrolled: 1-line block ×4, first 2 shown]
	v_cndmask_b32_e64 v13, -v13, v13, s[16:17]
	v_cndmask_b32_e64 v12, -v12, v12, s[16:17]
	;; [unrolled: 1-line block ×8, first 2 shown]
	s_waitcnt lgkmcnt(0)
	v_pk_add_f32 v[14:15], v[14:15], v[18:19]
	v_pk_add_f32 v[12:13], v[12:13], v[16:17]
	;; [unrolled: 1-line block ×4, first 2 shown]
	ds_write_b128 v69, v[12:15] offset:16384
	ds_bpermute_b32 v12, v67, v4
	ds_bpermute_b32 v13, v67, v5
	;; [unrolled: 1-line block ×8, first 2 shown]
	v_cndmask_b32_e64 v5, -v5, v5, s[16:17]
	v_cndmask_b32_e64 v4, -v4, v4, s[16:17]
	;; [unrolled: 1-line block ×4, first 2 shown]
	s_waitcnt lgkmcnt(4)
	v_pk_add_f32 v[6:7], v[6:7], v[14:15]
	v_pk_add_f32 v[4:5], v[4:5], v[12:13]
	ds_write_b128 v69, v[4:7] offset:20480
	v_cndmask_b32_e64 v5, -v9, v9, s[14:15]
	v_cndmask_b32_e64 v4, -v8, v8, s[14:15]
	;; [unrolled: 1-line block ×4, first 2 shown]
	s_waitcnt lgkmcnt(1)
	v_pk_add_f32 v[6:7], v[6:7], v[84:85]
	v_pk_add_f32 v[4:5], v[4:5], v[26:27]
	ds_bpermute_b32 v20, v66, v0
	ds_bpermute_b32 v21, v66, v1
	;; [unrolled: 1-line block ×12, first 2 shown]
	v_cndmask_b32_e64 v5, -v5, v5, s[16:17]
	v_cndmask_b32_e64 v4, -v4, v4, s[16:17]
	;; [unrolled: 1-line block ×12, first 2 shown]
	s_waitcnt lgkmcnt(0)
	v_pk_add_f32 v[6:7], v[6:7], v[10:11]
	v_pk_add_f32 v[4:5], v[4:5], v[8:9]
	;; [unrolled: 1-line block ×6, first 2 shown]
	ds_bpermute_b32 v88, v66, v56
	ds_bpermute_b32 v89, v66, v57
	;; [unrolled: 1-line block ×4, first 2 shown]
	ds_write_b128 v69, v[4:7] offset:24576
	ds_bpermute_b32 v4, v67, v0
	ds_bpermute_b32 v5, v67, v1
	;; [unrolled: 1-line block ×8, first 2 shown]
	v_cndmask_b32_e64 v1, -v1, v1, s[16:17]
	v_cndmask_b32_e64 v0, -v0, v0, s[16:17]
	;; [unrolled: 1-line block ×12, first 2 shown]
	s_waitcnt lgkmcnt(4)
	v_pk_add_f32 v[2:3], v[2:3], v[6:7]
	v_pk_add_f32 v[0:1], v[0:1], v[4:5]
	s_waitcnt lgkmcnt(0)
	v_pk_add_f32 v[62:63], v[14:15], v[30:31]
	v_pk_add_f32 v[60:61], v[12:13], v[28:29]
	;; [unrolled: 1-line block ×4, first 2 shown]
	ds_bpermute_b32 v64, v66, v52
	ds_bpermute_b32 v65, v66, v53
	;; [unrolled: 1-line block ×4, first 2 shown]
	ds_write_b128 v69, v[0:3] offset:28672
	s_waitcnt lgkmcnt(0)
	s_barrier
	ds_read_b128 v[16:19], v68
	ds_read_b128 v[0:3], v68 offset:4096
	ds_read_b128 v[20:23], v68 offset:8192
	;; [unrolled: 1-line block ×7, first 2 shown]
	s_waitcnt lgkmcnt(0)
	s_barrier
	ds_write_b128 v69, v[60:63]
	ds_bpermute_b32 v62, v67, v56
	ds_bpermute_b32 v63, v67, v57
	ds_bpermute_b32 v78, v67, v58
	ds_bpermute_b32 v79, v67, v59
	v_cndmask_b32_e64 v57, -v57, v57, s[16:17]
	v_cndmask_b32_e64 v56, -v56, v56, s[16:17]
	v_cndmask_b32_e64 v59, -v59, v59, s[16:17]
	v_cndmask_b32_e64 v58, -v58, v58, s[16:17]
	v_cndmask_b32_e64 v53, -v53, v53, s[14:15]
	v_cndmask_b32_e64 v52, -v52, v52, s[14:15]
	v_cndmask_b32_e64 v55, -v55, v55, s[14:15]
	v_cndmask_b32_e64 v54, -v54, v54, s[14:15]
	s_waitcnt lgkmcnt(0)
	v_pk_add_f32 v[58:59], v[58:59], v[78:79]
	v_pk_add_f32 v[56:57], v[56:57], v[62:63]
	v_pk_add_f32 v[54:55], v[54:55], v[90:91]
	v_pk_add_f32 v[52:53], v[52:53], v[64:65]
	ds_bpermute_b32 v60, v66, v48
	ds_bpermute_b32 v61, v66, v49
	ds_bpermute_b32 v80, v66, v50
	ds_bpermute_b32 v81, v66, v51
	ds_write_b128 v69, v[56:59] offset:4096
	ds_bpermute_b32 v58, v67, v52
	ds_bpermute_b32 v59, v67, v53
	ds_bpermute_b32 v64, v67, v54
	ds_bpermute_b32 v65, v67, v55
	v_cndmask_b32_e64 v53, -v53, v53, s[16:17]
	v_cndmask_b32_e64 v52, -v52, v52, s[16:17]
	v_cndmask_b32_e64 v55, -v55, v55, s[16:17]
	v_cndmask_b32_e64 v54, -v54, v54, s[16:17]
	v_cndmask_b32_e64 v49, -v49, v49, s[14:15]
	v_cndmask_b32_e64 v48, -v48, v48, s[14:15]
	v_cndmask_b32_e64 v51, -v51, v51, s[14:15]
	v_cndmask_b32_e64 v50, -v50, v50, s[14:15]
	s_waitcnt lgkmcnt(0)
	v_pk_add_f32 v[54:55], v[54:55], v[64:65]
	v_pk_add_f32 v[52:53], v[52:53], v[58:59]
	v_pk_add_f32 v[50:51], v[50:51], v[80:81]
	v_pk_add_f32 v[48:49], v[48:49], v[60:61]
	ds_bpermute_b32 v62, v66, v44
	ds_bpermute_b32 v63, v66, v45
	ds_bpermute_b32 v78, v66, v46
	ds_bpermute_b32 v79, v66, v47
	ds_write_b128 v69, v[52:55] offset:8192
	;; [unrolled: 22-line block ×5, first 2 shown]
	ds_bpermute_b32 v40, v67, v36
	ds_bpermute_b32 v41, v67, v37
	ds_bpermute_b32 v42, v67, v38
	ds_bpermute_b32 v43, v67, v39
	v_cndmask_b32_e64 v37, -v37, v37, s[16:17]
	v_cndmask_b32_e64 v36, -v36, v36, s[16:17]
	;; [unrolled: 1-line block ×8, first 2 shown]
	s_waitcnt lgkmcnt(0)
	v_pk_add_f32 v[38:39], v[38:39], v[42:43]
	v_pk_add_f32 v[36:37], v[36:37], v[40:41]
	v_pk_add_f32 v[34:35], v[34:35], v[80:81]
	v_pk_add_f32 v[32:33], v[32:33], v[52:53]
	ds_write_b128 v69, v[36:39] offset:24576
	ds_bpermute_b32 v36, v67, v32
	ds_bpermute_b32 v37, v67, v33
	;; [unrolled: 1-line block ×4, first 2 shown]
	v_cndmask_b32_e64 v33, -v33, v33, s[16:17]
	v_cndmask_b32_e64 v32, -v32, v32, s[16:17]
	;; [unrolled: 1-line block ×4, first 2 shown]
	s_waitcnt lgkmcnt(0)
	v_pk_add_f32 v[34:35], v[34:35], v[38:39]
	v_pk_add_f32 v[32:33], v[32:33], v[36:37]
	ds_write_b128 v69, v[32:35] offset:28672
	s_waitcnt lgkmcnt(0)
	s_barrier
	ds_read_b128 v[48:51], v68
	ds_read_b128 v[32:35], v68 offset:4096
	ds_read_b128 v[52:55], v68 offset:8192
	;; [unrolled: 1-line block ×7, first 2 shown]
	s_waitcnt lgkmcnt(5)
	v_mov_b32_e32 v64, v52
	v_mov_b32_e32 v65, v16
	;; [unrolled: 1-line block ×4, first 2 shown]
	v_pk_add_f32 v[66:67], v[64:65], v[66:67]
	s_waitcnt lgkmcnt(1)
	v_mov_b32_e32 v64, v60
	v_mov_b32_e32 v65, v24
	;; [unrolled: 1-line block ×4, first 2 shown]
	v_pk_add_f32 v[68:69], v[64:65], v[68:69]
	v_pk_add_f32 v[64:65], v[66:67], v[68:69]
	v_add_f32_e32 v78, v64, v65
	v_mul_f32_e32 v79, s28, v78
	s_mov_b32 s4, 0x7f800000
	v_and_b32_e32 v78, 0x7f800000, v79
	v_cmp_ne_u32_e64 s[4:5], s4, v78
                                        ; implicit-def: $vgpr78
	s_and_saveexec_b64 s[14:15], s[4:5]
	s_xor_b64 s[4:5], exec, s[14:15]
; %bb.17:
	v_bfe_u32 v78, v79, 16, 1
	s_movk_i32 s14, 0x7fff
	v_add3_u32 v78, v79, v78, s14
                                        ; implicit-def: $vgpr79
; %bb.18:
	s_andn2_saveexec_b64 s[14:15], s[4:5]
; %bb.19:
	v_mov_b32_e32 v78, 0
	v_or_b32_e32 v80, 0x10000, v79
	v_cmp_eq_u32_sdwa s[4:5], v79, v78 src0_sel:WORD_0 src1_sel:DWORD
	v_cndmask_b32_e64 v78, v80, v79, s[4:5]
; %bb.20:
	s_or_b64 exec, exec, s[14:15]
	v_add_f32_e32 v100, v17, v21
	v_add_f32_e32 v101, v25, v29
	;; [unrolled: 1-line block ×7, first 2 shown]
	v_mul_f32_e32 v80, s28, v79
	s_mov_b32 s4, 0x7f800000
	v_and_b32_e32 v79, 0x7f800000, v80
	v_cmp_ne_u32_e64 s[4:5], s4, v79
                                        ; implicit-def: $vgpr79
	s_and_saveexec_b64 s[14:15], s[4:5]
	s_xor_b64 s[4:5], exec, s[14:15]
; %bb.21:
	v_bfe_u32 v79, v80, 16, 1
	s_movk_i32 s14, 0x7fff
	v_add3_u32 v79, v80, v79, s14
                                        ; implicit-def: $vgpr80
; %bb.22:
	s_andn2_saveexec_b64 s[14:15], s[4:5]
; %bb.23:
	v_mov_b32_e32 v79, 0
	v_or_b32_e32 v81, 0x10000, v80
	v_cmp_eq_u32_sdwa s[4:5], v80, v79 src0_sel:WORD_0 src1_sel:DWORD
	v_cndmask_b32_e64 v79, v81, v80, s[4:5]
; %bb.24:
	s_or_b64 exec, exec, s[14:15]
	v_add_f32_e32 v104, v18, v22
	v_add_f32_e32 v105, v26, v30
	;; [unrolled: 1-line block ×7, first 2 shown]
	v_mul_f32_e32 v81, s28, v80
	s_mov_b32 s4, 0x7f800000
	v_and_b32_e32 v80, 0x7f800000, v81
	v_cmp_ne_u32_e64 s[4:5], s4, v80
                                        ; implicit-def: $vgpr80
	s_and_saveexec_b64 s[14:15], s[4:5]
	s_xor_b64 s[4:5], exec, s[14:15]
; %bb.25:
	v_bfe_u32 v80, v81, 16, 1
	s_movk_i32 s14, 0x7fff
	v_add3_u32 v80, v81, v80, s14
                                        ; implicit-def: $vgpr81
; %bb.26:
	s_andn2_saveexec_b64 s[14:15], s[4:5]
; %bb.27:
	v_mov_b32_e32 v80, 0
	v_or_b32_e32 v82, 0x10000, v81
	v_cmp_eq_u32_sdwa s[4:5], v81, v80 src0_sel:WORD_0 src1_sel:DWORD
	v_cndmask_b32_e64 v80, v82, v81, s[4:5]
; %bb.28:
	s_or_b64 exec, exec, s[14:15]
	v_add_f32_e32 v108, v19, v23
	v_add_f32_e32 v109, v27, v31
	;; [unrolled: 1-line block ×7, first 2 shown]
	v_mul_f32_e32 v82, s28, v81
	s_mov_b32 s4, 0x7f800000
	v_and_b32_e32 v81, 0x7f800000, v82
	v_cmp_ne_u32_e64 s[4:5], s4, v81
                                        ; implicit-def: $vgpr81
	s_and_saveexec_b64 s[14:15], s[4:5]
	s_xor_b64 s[4:5], exec, s[14:15]
; %bb.29:
	v_bfe_u32 v81, v82, 16, 1
	s_movk_i32 s14, 0x7fff
	v_add3_u32 v81, v82, v81, s14
                                        ; implicit-def: $vgpr82
; %bb.30:
	s_andn2_saveexec_b64 s[14:15], s[4:5]
; %bb.31:
	v_mov_b32_e32 v81, 0
	v_or_b32_e32 v83, 0x10000, v82
	v_cmp_eq_u32_sdwa s[4:5], v82, v81 src0_sel:WORD_0 src1_sel:DWORD
	v_cndmask_b32_e64 v81, v83, v82, s[4:5]
; %bb.32:
	s_or_b64 exec, exec, s[14:15]
	v_add_f32_e32 v112, v0, v4
	v_add_f32_e32 v113, v8, v12
	;; [unrolled: 1-line block ×3, first 2 shown]
	s_waitcnt lgkmcnt(0)
	v_add_f32_e32 v115, v40, v44
	v_add_f32_e32 v92, v112, v113
	;; [unrolled: 1-line block ×4, first 2 shown]
	v_mul_f32_e32 v83, s28, v82
	s_mov_b32 s4, 0x7f800000
	v_and_b32_e32 v82, 0x7f800000, v83
	v_cmp_ne_u32_e64 s[4:5], s4, v82
                                        ; implicit-def: $vgpr82
	s_and_saveexec_b64 s[14:15], s[4:5]
	s_xor_b64 s[4:5], exec, s[14:15]
; %bb.33:
	v_bfe_u32 v82, v83, 16, 1
	s_movk_i32 s14, 0x7fff
	v_add3_u32 v82, v83, v82, s14
                                        ; implicit-def: $vgpr83
; %bb.34:
	s_andn2_saveexec_b64 s[14:15], s[4:5]
; %bb.35:
	v_mov_b32_e32 v82, 0
	v_or_b32_e32 v84, 0x10000, v83
	v_cmp_eq_u32_sdwa s[4:5], v83, v82 src0_sel:WORD_0 src1_sel:DWORD
	v_cndmask_b32_e64 v82, v84, v83, s[4:5]
; %bb.36:
	s_or_b64 exec, exec, s[14:15]
	v_add_f32_e32 v116, v1, v5
	v_add_f32_e32 v117, v9, v13
	;; [unrolled: 1-line block ×7, first 2 shown]
	v_mul_f32_e32 v84, s28, v83
	s_mov_b32 s4, 0x7f800000
	v_and_b32_e32 v83, 0x7f800000, v84
	v_cmp_ne_u32_e64 s[4:5], s4, v83
                                        ; implicit-def: $vgpr83
	s_and_saveexec_b64 s[14:15], s[4:5]
	s_xor_b64 s[4:5], exec, s[14:15]
; %bb.37:
	v_bfe_u32 v83, v84, 16, 1
	s_movk_i32 s14, 0x7fff
	v_add3_u32 v83, v84, v83, s14
                                        ; implicit-def: $vgpr84
; %bb.38:
	s_andn2_saveexec_b64 s[14:15], s[4:5]
; %bb.39:
	v_mov_b32_e32 v83, 0
	v_or_b32_e32 v85, 0x10000, v84
	v_cmp_eq_u32_sdwa s[4:5], v84, v83 src0_sel:WORD_0 src1_sel:DWORD
	v_cndmask_b32_e64 v83, v85, v84, s[4:5]
; %bb.40:
	s_or_b64 exec, exec, s[14:15]
	v_add_f32_e32 v120, v2, v6
	v_add_f32_e32 v121, v10, v14
	;; [unrolled: 1-line block ×7, first 2 shown]
	v_mul_f32_e32 v85, s28, v84
	s_mov_b32 s4, 0x7f800000
	v_and_b32_e32 v84, 0x7f800000, v85
	v_cmp_ne_u32_e64 s[4:5], s4, v84
                                        ; implicit-def: $vgpr84
	s_and_saveexec_b64 s[14:15], s[4:5]
	s_xor_b64 s[4:5], exec, s[14:15]
; %bb.41:
	v_bfe_u32 v84, v85, 16, 1
	s_movk_i32 s14, 0x7fff
	v_add3_u32 v84, v85, v84, s14
                                        ; implicit-def: $vgpr85
; %bb.42:
	s_andn2_saveexec_b64 s[14:15], s[4:5]
; %bb.43:
	v_mov_b32_e32 v84, 0
	v_or_b32_e32 v98, 0x10000, v85
	v_cmp_eq_u32_sdwa s[4:5], v85, v84 src0_sel:WORD_0 src1_sel:DWORD
	v_cndmask_b32_e64 v84, v98, v85, s[4:5]
; %bb.44:
	s_or_b64 exec, exec, s[14:15]
	v_add_f32_e32 v124, v3, v7
	v_add_f32_e32 v125, v11, v15
	;; [unrolled: 1-line block ×7, first 2 shown]
	v_mul_f32_e32 v128, s28, v85
	s_mov_b32 s4, 0x7f800000
	v_and_b32_e32 v85, 0x7f800000, v128
	v_cmp_ne_u32_e64 s[4:5], s4, v85
                                        ; implicit-def: $vgpr85
	s_and_saveexec_b64 s[14:15], s[4:5]
	s_xor_b64 s[4:5], exec, s[14:15]
; %bb.45:
	v_bfe_u32 v85, v128, 16, 1
	s_movk_i32 s14, 0x7fff
	v_add3_u32 v85, v128, v85, s14
                                        ; implicit-def: $vgpr128
; %bb.46:
	s_andn2_saveexec_b64 s[14:15], s[4:5]
; %bb.47:
	v_mov_b32_e32 v85, 0
	v_or_b32_e32 v129, 0x10000, v128
	v_cmp_eq_u32_sdwa s[4:5], v128, v85 src0_sel:WORD_0 src1_sel:DWORD
	v_cndmask_b32_e64 v85, v129, v128, s[4:5]
; %bb.48:
	s_or_b64 exec, exec, s[14:15]
	v_sub_f32_e32 v20, v16, v20
	v_sub_f32_e32 v24, v24, v28
	;; [unrolled: 1-line block ×4, first 2 shown]
	v_add_f32_e32 v28, v20, v24
	v_add_f32_e32 v48, v128, v60
	;; [unrolled: 1-line block ×3, first 2 shown]
	v_mul_f32_e32 v52, s28, v16
	s_mov_b32 s4, 0x7f800000
	v_and_b32_e32 v16, 0x7f800000, v52
	v_cmp_ne_u32_e64 s[4:5], s4, v16
                                        ; implicit-def: $vgpr16
	s_and_saveexec_b64 s[14:15], s[4:5]
	s_xor_b64 s[4:5], exec, s[14:15]
; %bb.49:
	v_bfe_u32 v16, v52, 16, 1
	s_movk_i32 s14, 0x7fff
	v_add3_u32 v16, v52, v16, s14
                                        ; implicit-def: $vgpr52
; %bb.50:
	s_andn2_saveexec_b64 s[14:15], s[4:5]
; %bb.51:
	v_mov_b32_e32 v16, 0
	v_or_b32_e32 v56, 0x10000, v52
	v_cmp_eq_u32_sdwa s[4:5], v52, v16 src0_sel:WORD_0 src1_sel:DWORD
	v_cndmask_b32_e64 v16, v56, v52, s[4:5]
; %bb.52:
	s_or_b64 exec, exec, s[14:15]
	v_sub_f32_e32 v21, v17, v21
	v_sub_f32_e32 v25, v25, v29
	v_sub_f32_e32 v129, v49, v53
	v_sub_f32_e32 v130, v57, v61
	v_add_f32_e32 v29, v21, v25
	v_add_f32_e32 v49, v129, v130
	v_add_f32_e32 v17, v49, v29
	v_mul_f32_e32 v52, s28, v17
	s_mov_b32 s4, 0x7f800000
	v_and_b32_e32 v17, 0x7f800000, v52
	v_cmp_ne_u32_e64 s[4:5], s4, v17
                                        ; implicit-def: $vgpr17
	s_and_saveexec_b64 s[14:15], s[4:5]
	s_xor_b64 s[4:5], exec, s[14:15]
; %bb.53:
	v_bfe_u32 v17, v52, 16, 1
	s_movk_i32 s14, 0x7fff
	v_add3_u32 v17, v52, v17, s14
                                        ; implicit-def: $vgpr52
; %bb.54:
	s_andn2_saveexec_b64 s[14:15], s[4:5]
; %bb.55:
	v_mov_b32_e32 v17, 0
	v_or_b32_e32 v53, 0x10000, v52
	v_cmp_eq_u32_sdwa s[4:5], v52, v17 src0_sel:WORD_0 src1_sel:DWORD
	v_cndmask_b32_e64 v17, v53, v52, s[4:5]
; %bb.56:
	s_or_b64 exec, exec, s[14:15]
	v_sub_f32_e32 v22, v18, v22
	v_sub_f32_e32 v26, v26, v30
	;; [unrolled: 1-line block ×4, first 2 shown]
	v_add_f32_e32 v30, v22, v26
	v_add_f32_e32 v50, v131, v132
	;; [unrolled: 1-line block ×3, first 2 shown]
	v_mul_f32_e32 v52, s28, v18
	s_mov_b32 s4, 0x7f800000
	v_and_b32_e32 v18, 0x7f800000, v52
	v_cmp_ne_u32_e64 s[4:5], s4, v18
                                        ; implicit-def: $vgpr18
	s_and_saveexec_b64 s[14:15], s[4:5]
	s_xor_b64 s[4:5], exec, s[14:15]
; %bb.57:
	v_bfe_u32 v18, v52, 16, 1
	s_movk_i32 s14, 0x7fff
	v_add3_u32 v18, v52, v18, s14
                                        ; implicit-def: $vgpr52
; %bb.58:
	s_andn2_saveexec_b64 s[14:15], s[4:5]
; %bb.59:
	v_mov_b32_e32 v18, 0
	v_or_b32_e32 v53, 0x10000, v52
	v_cmp_eq_u32_sdwa s[4:5], v52, v18 src0_sel:WORD_0 src1_sel:DWORD
	v_cndmask_b32_e64 v18, v53, v52, s[4:5]
; %bb.60:
	s_or_b64 exec, exec, s[14:15]
	v_sub_f32_e32 v23, v19, v23
	v_sub_f32_e32 v27, v27, v31
	;; [unrolled: 1-line block ×4, first 2 shown]
	v_add_f32_e32 v31, v23, v27
	v_add_f32_e32 v51, v133, v134
	;; [unrolled: 1-line block ×3, first 2 shown]
	v_mul_f32_e32 v52, s28, v19
	s_mov_b32 s4, 0x7f800000
	v_and_b32_e32 v19, 0x7f800000, v52
	v_cmp_ne_u32_e64 s[4:5], s4, v19
                                        ; implicit-def: $vgpr19
	s_and_saveexec_b64 s[14:15], s[4:5]
	s_xor_b64 s[4:5], exec, s[14:15]
; %bb.61:
	v_bfe_u32 v19, v52, 16, 1
	s_movk_i32 s14, 0x7fff
	v_add3_u32 v19, v52, v19, s14
                                        ; implicit-def: $vgpr52
; %bb.62:
	s_andn2_saveexec_b64 s[14:15], s[4:5]
; %bb.63:
	v_mov_b32_e32 v19, 0
	v_or_b32_e32 v53, 0x10000, v52
	v_cmp_eq_u32_sdwa s[4:5], v52, v19 src0_sel:WORD_0 src1_sel:DWORD
	v_cndmask_b32_e64 v19, v53, v52, s[4:5]
; %bb.64:
	s_or_b64 exec, exec, s[14:15]
	v_sub_f32_e32 v135, v0, v4
	v_sub_f32_e32 v136, v8, v12
	;; [unrolled: 1-line block ×4, first 2 shown]
	v_add_f32_e32 v32, v135, v136
	v_add_f32_e32 v36, v137, v138
	;; [unrolled: 1-line block ×3, first 2 shown]
	v_mul_f32_e32 v0, s28, v0
	s_mov_b32 s4, 0x7f800000
	v_and_b32_e32 v4, 0x7f800000, v0
	v_cmp_ne_u32_e64 s[4:5], s4, v4
                                        ; implicit-def: $vgpr4
	s_and_saveexec_b64 s[14:15], s[4:5]
	s_xor_b64 s[4:5], exec, s[14:15]
; %bb.65:
	v_bfe_u32 v4, v0, 16, 1
	s_movk_i32 s14, 0x7fff
	v_add3_u32 v4, v0, v4, s14
                                        ; implicit-def: $vgpr0
; %bb.66:
	s_andn2_saveexec_b64 s[14:15], s[4:5]
; %bb.67:
	v_mov_b32_e32 v4, 0
	v_or_b32_e32 v8, 0x10000, v0
	v_cmp_eq_u32_sdwa s[4:5], v0, v4 src0_sel:WORD_0 src1_sel:DWORD
	v_cndmask_b32_e64 v4, v8, v0, s[4:5]
; %bb.68:
	s_or_b64 exec, exec, s[14:15]
	v_sub_f32_e32 v139, v1, v5
	v_sub_f32_e32 v140, v9, v13
	;; [unrolled: 1-line block ×4, first 2 shown]
	v_add_f32_e32 v33, v139, v140
	v_add_f32_e32 v37, v141, v142
	v_add_f32_e32 v0, v37, v33
	v_mul_f32_e32 v0, s28, v0
	s_mov_b32 s4, 0x7f800000
	v_and_b32_e32 v1, 0x7f800000, v0
	v_cmp_ne_u32_e64 s[4:5], s4, v1
                                        ; implicit-def: $vgpr5
	s_and_saveexec_b64 s[14:15], s[4:5]
	s_xor_b64 s[4:5], exec, s[14:15]
; %bb.69:
	v_bfe_u32 v1, v0, 16, 1
	s_movk_i32 s14, 0x7fff
	v_add3_u32 v5, v0, v1, s14
                                        ; implicit-def: $vgpr0
; %bb.70:
	s_andn2_saveexec_b64 s[14:15], s[4:5]
; %bb.71:
	v_mov_b32_e32 v1, 0
	v_or_b32_e32 v5, 0x10000, v0
	v_cmp_eq_u32_sdwa s[4:5], v0, v1 src0_sel:WORD_0 src1_sel:DWORD
	v_cndmask_b32_e64 v5, v5, v0, s[4:5]
; %bb.72:
	s_or_b64 exec, exec, s[14:15]
	v_sub_f32_e32 v2, v2, v6
	v_sub_f32_e32 v143, v10, v14
	;; [unrolled: 1-line block ×4, first 2 shown]
	v_add_f32_e32 v38, v2, v143
	v_add_f32_e32 v40, v34, v144
	;; [unrolled: 1-line block ×3, first 2 shown]
	v_mul_f32_e32 v0, s28, v0
	s_mov_b32 s4, 0x7f800000
	v_and_b32_e32 v1, 0x7f800000, v0
	v_cmp_ne_u32_e64 s[4:5], s4, v1
                                        ; implicit-def: $vgpr6
	s_and_saveexec_b64 s[14:15], s[4:5]
	s_xor_b64 s[4:5], exec, s[14:15]
; %bb.73:
	v_bfe_u32 v1, v0, 16, 1
	s_movk_i32 s14, 0x7fff
	v_add3_u32 v6, v0, v1, s14
                                        ; implicit-def: $vgpr0
; %bb.74:
	s_andn2_saveexec_b64 s[14:15], s[4:5]
; %bb.75:
	v_mov_b32_e32 v1, 0
	v_or_b32_e32 v6, 0x10000, v0
	v_cmp_eq_u32_sdwa s[4:5], v0, v1 src0_sel:WORD_0 src1_sel:DWORD
	v_cndmask_b32_e64 v6, v6, v0, s[4:5]
; %bb.76:
	s_or_b64 exec, exec, s[14:15]
	v_sub_f32_e32 v145, v3, v7
	v_sub_f32_e32 v146, v11, v15
	;; [unrolled: 1-line block ×4, first 2 shown]
	v_add_f32_e32 v35, v145, v146
	v_add_f32_e32 v39, v147, v148
	;; [unrolled: 1-line block ×3, first 2 shown]
	v_mul_f32_e32 v0, s28, v0
	s_mov_b32 s4, 0x7f800000
	v_and_b32_e32 v1, 0x7f800000, v0
	v_cmp_ne_u32_e64 s[4:5], s4, v1
                                        ; implicit-def: $vgpr3
	s_and_saveexec_b64 s[14:15], s[4:5]
	s_xor_b64 s[4:5], exec, s[14:15]
; %bb.77:
	v_bfe_u32 v1, v0, 16, 1
	s_movk_i32 s14, 0x7fff
	v_add3_u32 v3, v0, v1, s14
                                        ; implicit-def: $vgpr0
; %bb.78:
	s_andn2_saveexec_b64 s[14:15], s[4:5]
; %bb.79:
	v_mov_b32_e32 v1, 0
	v_or_b32_e32 v3, 0x10000, v0
	v_cmp_eq_u32_sdwa s[4:5], v0, v1 src0_sel:WORD_0 src1_sel:DWORD
	v_cndmask_b32_e64 v3, v3, v0, s[4:5]
; %bb.80:
	s_or_b64 exec, exec, s[14:15]
	v_pk_add_f32 v[0:1], v[66:67], v[68:69] neg_lo:[0,1] neg_hi:[0,1]
	v_add_f32_e32 v7, v1, v0
	v_mul_f32_e32 v8, s28, v7
	s_mov_b32 s4, 0x7f800000
	v_and_b32_e32 v7, 0x7f800000, v8
	v_cmp_ne_u32_e64 s[4:5], s4, v7
                                        ; implicit-def: $vgpr7
	s_and_saveexec_b64 s[14:15], s[4:5]
	s_xor_b64 s[4:5], exec, s[14:15]
; %bb.81:
	v_bfe_u32 v7, v8, 16, 1
	s_movk_i32 s14, 0x7fff
	v_add3_u32 v7, v8, v7, s14
                                        ; implicit-def: $vgpr8
; %bb.82:
	s_andn2_saveexec_b64 s[14:15], s[4:5]
; %bb.83:
	v_mov_b32_e32 v7, 0
	v_or_b32_e32 v9, 0x10000, v8
	v_cmp_eq_u32_sdwa s[4:5], v8, v7 src0_sel:WORD_0 src1_sel:DWORD
	v_cndmask_b32_e64 v7, v9, v8, s[4:5]
; %bb.84:
	s_or_b64 exec, exec, s[14:15]
	v_sub_f32_e32 v41, v100, v101
	v_sub_f32_e32 v42, v102, v103
	v_add_f32_e32 v8, v41, v42
	v_mul_f32_e32 v9, s28, v8
	s_mov_b32 s4, 0x7f800000
	v_and_b32_e32 v8, 0x7f800000, v9
	v_cmp_ne_u32_e64 s[4:5], s4, v8
                                        ; implicit-def: $vgpr8
	s_and_saveexec_b64 s[14:15], s[4:5]
	s_xor_b64 s[4:5], exec, s[14:15]
; %bb.85:
	v_bfe_u32 v8, v9, 16, 1
	s_movk_i32 s14, 0x7fff
	v_add3_u32 v8, v9, v8, s14
                                        ; implicit-def: $vgpr9
; %bb.86:
	s_andn2_saveexec_b64 s[14:15], s[4:5]
; %bb.87:
	v_mov_b32_e32 v8, 0
	v_or_b32_e32 v10, 0x10000, v9
	v_cmp_eq_u32_sdwa s[4:5], v9, v8 src0_sel:WORD_0 src1_sel:DWORD
	v_cndmask_b32_e64 v8, v10, v9, s[4:5]
; %bb.88:
	s_or_b64 exec, exec, s[14:15]
	v_sub_f32_e32 v43, v104, v105
	v_sub_f32_e32 v44, v106, v107
	v_add_f32_e32 v9, v43, v44
	v_mul_f32_e32 v10, s28, v9
	s_mov_b32 s4, 0x7f800000
	v_and_b32_e32 v9, 0x7f800000, v10
	v_cmp_ne_u32_e64 s[4:5], s4, v9
                                        ; implicit-def: $vgpr9
	s_and_saveexec_b64 s[14:15], s[4:5]
	s_xor_b64 s[4:5], exec, s[14:15]
; %bb.89:
	v_bfe_u32 v9, v10, 16, 1
	s_movk_i32 s14, 0x7fff
	v_add3_u32 v9, v10, v9, s14
                                        ; implicit-def: $vgpr10
; %bb.90:
	s_andn2_saveexec_b64 s[14:15], s[4:5]
; %bb.91:
	v_mov_b32_e32 v9, 0
	v_or_b32_e32 v11, 0x10000, v10
	v_cmp_eq_u32_sdwa s[4:5], v10, v9 src0_sel:WORD_0 src1_sel:DWORD
	v_cndmask_b32_e64 v9, v11, v10, s[4:5]
; %bb.92:
	s_or_b64 exec, exec, s[14:15]
	v_sub_f32_e32 v45, v108, v109
	v_sub_f32_e32 v46, v110, v111
	v_add_f32_e32 v10, v45, v46
	v_mul_f32_e32 v11, s28, v10
	s_mov_b32 s4, 0x7f800000
	v_and_b32_e32 v10, 0x7f800000, v11
	v_cmp_ne_u32_e64 s[4:5], s4, v10
                                        ; implicit-def: $vgpr10
	s_and_saveexec_b64 s[14:15], s[4:5]
	s_xor_b64 s[4:5], exec, s[14:15]
; %bb.93:
	v_bfe_u32 v10, v11, 16, 1
	s_movk_i32 s14, 0x7fff
	v_add3_u32 v10, v11, v10, s14
                                        ; implicit-def: $vgpr11
; %bb.94:
	s_andn2_saveexec_b64 s[14:15], s[4:5]
; %bb.95:
	v_mov_b32_e32 v10, 0
	v_or_b32_e32 v12, 0x10000, v11
	v_cmp_eq_u32_sdwa s[4:5], v11, v10 src0_sel:WORD_0 src1_sel:DWORD
	v_cndmask_b32_e64 v10, v12, v11, s[4:5]
; %bb.96:
	s_or_b64 exec, exec, s[14:15]
	v_sub_f32_e32 v47, v112, v113
	v_sub_f32_e32 v52, v114, v115
	v_add_f32_e32 v11, v47, v52
	v_mul_f32_e32 v12, s28, v11
	s_mov_b32 s4, 0x7f800000
	v_and_b32_e32 v11, 0x7f800000, v12
	v_cmp_ne_u32_e64 s[4:5], s4, v11
                                        ; implicit-def: $vgpr11
	s_and_saveexec_b64 s[14:15], s[4:5]
	s_xor_b64 s[4:5], exec, s[14:15]
; %bb.97:
	v_bfe_u32 v11, v12, 16, 1
	s_movk_i32 s14, 0x7fff
	v_add3_u32 v11, v12, v11, s14
                                        ; implicit-def: $vgpr12
; %bb.98:
	s_andn2_saveexec_b64 s[14:15], s[4:5]
; %bb.99:
	v_mov_b32_e32 v11, 0
	v_or_b32_e32 v13, 0x10000, v12
	v_cmp_eq_u32_sdwa s[4:5], v12, v11 src0_sel:WORD_0 src1_sel:DWORD
	v_cndmask_b32_e64 v11, v13, v12, s[4:5]
; %bb.100:
	s_or_b64 exec, exec, s[14:15]
	v_sub_f32_e32 v53, v116, v117
	v_sub_f32_e32 v54, v118, v119
	v_add_f32_e32 v12, v53, v54
	v_mul_f32_e32 v13, s28, v12
	s_mov_b32 s4, 0x7f800000
	v_and_b32_e32 v12, 0x7f800000, v13
	v_cmp_ne_u32_e64 s[4:5], s4, v12
                                        ; implicit-def: $vgpr12
	s_and_saveexec_b64 s[14:15], s[4:5]
	s_xor_b64 s[4:5], exec, s[14:15]
; %bb.101:
	v_bfe_u32 v12, v13, 16, 1
	s_movk_i32 s14, 0x7fff
	v_add3_u32 v12, v13, v12, s14
                                        ; implicit-def: $vgpr13
; %bb.102:
	s_andn2_saveexec_b64 s[14:15], s[4:5]
; %bb.103:
	v_mov_b32_e32 v12, 0
	v_or_b32_e32 v14, 0x10000, v13
	v_cmp_eq_u32_sdwa s[4:5], v13, v12 src0_sel:WORD_0 src1_sel:DWORD
	v_cndmask_b32_e64 v12, v14, v13, s[4:5]
; %bb.104:
	s_or_b64 exec, exec, s[14:15]
	v_sub_f32_e32 v55, v120, v121
	v_sub_f32_e32 v56, v122, v123
	v_add_f32_e32 v13, v55, v56
	v_mul_f32_e32 v14, s28, v13
	s_mov_b32 s4, 0x7f800000
	v_and_b32_e32 v13, 0x7f800000, v14
	v_cmp_ne_u32_e64 s[4:5], s4, v13
                                        ; implicit-def: $vgpr13
	s_and_saveexec_b64 s[14:15], s[4:5]
	s_xor_b64 s[4:5], exec, s[14:15]
; %bb.105:
	v_bfe_u32 v13, v14, 16, 1
	s_movk_i32 s14, 0x7fff
	v_add3_u32 v13, v14, v13, s14
                                        ; implicit-def: $vgpr14
; %bb.106:
	s_andn2_saveexec_b64 s[14:15], s[4:5]
; %bb.107:
	v_mov_b32_e32 v13, 0
	v_or_b32_e32 v15, 0x10000, v14
	v_cmp_eq_u32_sdwa s[4:5], v14, v13 src0_sel:WORD_0 src1_sel:DWORD
	v_cndmask_b32_e64 v13, v15, v14, s[4:5]
; %bb.108:
	s_or_b64 exec, exec, s[14:15]
	v_sub_f32_e32 v57, v124, v125
	v_sub_f32_e32 v58, v126, v127
	v_add_f32_e32 v14, v57, v58
	v_mul_f32_e32 v15, s28, v14
	s_mov_b32 s4, 0x7f800000
	v_and_b32_e32 v14, 0x7f800000, v15
	v_cmp_ne_u32_e64 s[4:5], s4, v14
                                        ; implicit-def: $vgpr14
	s_and_saveexec_b64 s[14:15], s[4:5]
	s_xor_b64 s[4:5], exec, s[14:15]
; %bb.109:
	v_bfe_u32 v14, v15, 16, 1
	s_movk_i32 s14, 0x7fff
	v_add3_u32 v14, v15, v14, s14
                                        ; implicit-def: $vgpr15
; %bb.110:
	s_andn2_saveexec_b64 s[14:15], s[4:5]
; %bb.111:
	v_mov_b32_e32 v14, 0
	v_or_b32_e32 v59, 0x10000, v15
	v_cmp_eq_u32_sdwa s[4:5], v15, v14 src0_sel:WORD_0 src1_sel:DWORD
	v_cndmask_b32_e64 v14, v59, v15, s[4:5]
; %bb.112:
	s_or_b64 exec, exec, s[14:15]
	v_sub_f32_e32 v59, v20, v24
	v_sub_f32_e32 v60, v128, v60
	v_add_f32_e32 v15, v59, v60
	v_mul_f32_e32 v20, s28, v15
	s_mov_b32 s4, 0x7f800000
	v_and_b32_e32 v15, 0x7f800000, v20
	v_cmp_ne_u32_e64 s[4:5], s4, v15
                                        ; implicit-def: $vgpr15
	s_and_saveexec_b64 s[14:15], s[4:5]
	s_xor_b64 s[4:5], exec, s[14:15]
; %bb.113:
	v_bfe_u32 v15, v20, 16, 1
	s_movk_i32 s14, 0x7fff
	v_add3_u32 v15, v20, v15, s14
                                        ; implicit-def: $vgpr20
; %bb.114:
	s_andn2_saveexec_b64 s[14:15], s[4:5]
; %bb.115:
	v_mov_b32_e32 v15, 0
	v_or_b32_e32 v24, 0x10000, v20
	v_cmp_eq_u32_sdwa s[4:5], v20, v15 src0_sel:WORD_0 src1_sel:DWORD
	v_cndmask_b32_e64 v15, v24, v20, s[4:5]
; %bb.116:
	s_or_b64 exec, exec, s[14:15]
	v_sub_f32_e32 v61, v21, v25
	v_sub_f32_e32 v62, v129, v130
	v_add_f32_e32 v20, v61, v62
	v_mul_f32_e32 v21, s28, v20
	s_mov_b32 s4, 0x7f800000
	v_and_b32_e32 v20, 0x7f800000, v21
	v_cmp_ne_u32_e64 s[4:5], s4, v20
                                        ; implicit-def: $vgpr20
	s_and_saveexec_b64 s[14:15], s[4:5]
	s_xor_b64 s[4:5], exec, s[14:15]
; %bb.117:
	v_bfe_u32 v20, v21, 16, 1
	s_movk_i32 s14, 0x7fff
	v_add3_u32 v20, v21, v20, s14
                                        ; implicit-def: $vgpr21
; %bb.118:
	s_andn2_saveexec_b64 s[14:15], s[4:5]
; %bb.119:
	v_mov_b32_e32 v20, 0
	v_or_b32_e32 v24, 0x10000, v21
	v_cmp_eq_u32_sdwa s[4:5], v21, v20 src0_sel:WORD_0 src1_sel:DWORD
	v_cndmask_b32_e64 v20, v24, v21, s[4:5]
; %bb.120:
	s_or_b64 exec, exec, s[14:15]
	v_sub_f32_e32 v63, v22, v26
	v_sub_f32_e32 v66, v131, v132
	v_add_f32_e32 v21, v63, v66
	v_mul_f32_e32 v22, s28, v21
	s_mov_b32 s4, 0x7f800000
	v_and_b32_e32 v21, 0x7f800000, v22
	v_cmp_ne_u32_e64 s[4:5], s4, v21
                                        ; implicit-def: $vgpr21
	s_and_saveexec_b64 s[14:15], s[4:5]
	s_xor_b64 s[4:5], exec, s[14:15]
; %bb.121:
	v_bfe_u32 v21, v22, 16, 1
	s_movk_i32 s14, 0x7fff
	v_add3_u32 v21, v22, v21, s14
                                        ; implicit-def: $vgpr22
; %bb.122:
	s_andn2_saveexec_b64 s[14:15], s[4:5]
; %bb.123:
	v_mov_b32_e32 v21, 0
	v_or_b32_e32 v24, 0x10000, v22
	v_cmp_eq_u32_sdwa s[4:5], v22, v21 src0_sel:WORD_0 src1_sel:DWORD
	v_cndmask_b32_e64 v21, v24, v22, s[4:5]
; %bb.124:
	s_or_b64 exec, exec, s[14:15]
	v_sub_f32_e32 v67, v23, v27
	v_sub_f32_e32 v68, v133, v134
	v_add_f32_e32 v22, v67, v68
	v_mul_f32_e32 v23, s28, v22
	s_mov_b32 s4, 0x7f800000
	v_and_b32_e32 v22, 0x7f800000, v23
	v_cmp_ne_u32_e64 s[4:5], s4, v22
                                        ; implicit-def: $vgpr22
	s_and_saveexec_b64 s[14:15], s[4:5]
	s_xor_b64 s[4:5], exec, s[14:15]
; %bb.125:
	v_bfe_u32 v22, v23, 16, 1
	s_movk_i32 s14, 0x7fff
	v_add3_u32 v22, v23, v22, s14
                                        ; implicit-def: $vgpr23
; %bb.126:
	s_andn2_saveexec_b64 s[14:15], s[4:5]
; %bb.127:
	v_mov_b32_e32 v22, 0
	v_or_b32_e32 v24, 0x10000, v23
	v_cmp_eq_u32_sdwa s[4:5], v23, v22 src0_sel:WORD_0 src1_sel:DWORD
	v_cndmask_b32_e64 v22, v24, v23, s[4:5]
; %bb.128:
	s_or_b64 exec, exec, s[14:15]
	v_sub_f32_e32 v69, v135, v136
	v_sub_f32_e32 v100, v137, v138
	v_add_f32_e32 v23, v69, v100
	v_mul_f32_e32 v24, s28, v23
	s_mov_b32 s4, 0x7f800000
	v_and_b32_e32 v23, 0x7f800000, v24
	v_cmp_ne_u32_e64 s[4:5], s4, v23
                                        ; implicit-def: $vgpr23
	s_and_saveexec_b64 s[14:15], s[4:5]
	s_xor_b64 s[4:5], exec, s[14:15]
; %bb.129:
	v_bfe_u32 v23, v24, 16, 1
	s_movk_i32 s14, 0x7fff
	v_add3_u32 v23, v24, v23, s14
                                        ; implicit-def: $vgpr24
; %bb.130:
	s_andn2_saveexec_b64 s[14:15], s[4:5]
; %bb.131:
	v_mov_b32_e32 v23, 0
	v_or_b32_e32 v25, 0x10000, v24
	v_cmp_eq_u32_sdwa s[4:5], v24, v23 src0_sel:WORD_0 src1_sel:DWORD
	v_cndmask_b32_e64 v23, v25, v24, s[4:5]
; %bb.132:
	s_or_b64 exec, exec, s[14:15]
	v_sub_f32_e32 v101, v139, v140
	v_sub_f32_e32 v102, v141, v142
	v_add_f32_e32 v24, v101, v102
	v_mul_f32_e32 v25, s28, v24
	s_mov_b32 s4, 0x7f800000
	v_and_b32_e32 v24, 0x7f800000, v25
	v_cmp_ne_u32_e64 s[4:5], s4, v24
                                        ; implicit-def: $vgpr24
	s_and_saveexec_b64 s[14:15], s[4:5]
	s_xor_b64 s[4:5], exec, s[14:15]
; %bb.133:
	v_bfe_u32 v24, v25, 16, 1
	s_movk_i32 s14, 0x7fff
	v_add3_u32 v24, v25, v24, s14
                                        ; implicit-def: $vgpr25
; %bb.134:
	s_andn2_saveexec_b64 s[14:15], s[4:5]
; %bb.135:
	v_mov_b32_e32 v24, 0
	v_or_b32_e32 v26, 0x10000, v25
	v_cmp_eq_u32_sdwa s[4:5], v25, v24 src0_sel:WORD_0 src1_sel:DWORD
	v_cndmask_b32_e64 v24, v26, v25, s[4:5]
; %bb.136:
	s_or_b64 exec, exec, s[14:15]
	v_sub_f32_e32 v103, v2, v143
	v_sub_f32_e32 v104, v34, v144
	v_add_f32_e32 v2, v103, v104
	v_mul_f32_e32 v2, s28, v2
	s_mov_b32 s4, 0x7f800000
	v_and_b32_e32 v25, 0x7f800000, v2
	v_cmp_ne_u32_e64 s[4:5], s4, v25
                                        ; implicit-def: $vgpr25
	s_and_saveexec_b64 s[14:15], s[4:5]
	s_xor_b64 s[4:5], exec, s[14:15]
; %bb.137:
	v_bfe_u32 v25, v2, 16, 1
	s_movk_i32 s14, 0x7fff
	v_add3_u32 v25, v2, v25, s14
                                        ; implicit-def: $vgpr2
; %bb.138:
	s_andn2_saveexec_b64 s[14:15], s[4:5]
; %bb.139:
	v_mov_b32_e32 v25, 0
	v_or_b32_e32 v26, 0x10000, v2
	v_cmp_eq_u32_sdwa s[4:5], v2, v25 src0_sel:WORD_0 src1_sel:DWORD
	v_cndmask_b32_e64 v25, v26, v2, s[4:5]
; %bb.140:
	s_or_b64 exec, exec, s[14:15]
	v_sub_f32_e32 v105, v145, v146
	v_sub_f32_e32 v106, v147, v148
	v_add_f32_e32 v2, v105, v106
	v_mul_f32_e32 v27, s28, v2
	s_mov_b32 s4, 0x7f800000
	v_and_b32_e32 v2, 0x7f800000, v27
	v_cmp_ne_u32_e64 s[4:5], s4, v2
                                        ; implicit-def: $vgpr26
	s_and_saveexec_b64 s[14:15], s[4:5]
	s_xor_b64 s[4:5], exec, s[14:15]
; %bb.141:
	v_bfe_u32 v2, v27, 16, 1
	s_movk_i32 s14, 0x7fff
	v_add3_u32 v26, v27, v2, s14
                                        ; implicit-def: $vgpr27
; %bb.142:
	s_or_saveexec_b64 s[14:15], s[4:5]
	v_mov_b32_e32 v2, v65
	s_xor_b64 exec, exec, s[14:15]
; %bb.143:
	v_mov_b32_e32 v26, 0
	v_or_b32_e32 v34, 0x10000, v27
	v_cmp_eq_u32_sdwa s[4:5], v27, v26 src0_sel:WORD_0 src1_sel:DWORD
	v_cndmask_b32_e64 v26, v34, v27, s[4:5]
; %bb.144:
	s_or_b64 exec, exec, s[14:15]
	v_sub_f32_e32 v2, v2, v64
	v_mul_f32_e32 v2, s28, v2
	s_mov_b32 s4, 0x7f800000
	v_and_b32_e32 v27, 0x7f800000, v2
	v_cmp_ne_u32_e64 s[4:5], s4, v27
                                        ; implicit-def: $vgpr27
	s_and_saveexec_b64 s[14:15], s[4:5]
	s_xor_b64 s[4:5], exec, s[14:15]
; %bb.145:
	v_bfe_u32 v27, v2, 16, 1
	s_movk_i32 s14, 0x7fff
	v_add3_u32 v27, v2, v27, s14
                                        ; implicit-def: $vgpr2
; %bb.146:
	s_andn2_saveexec_b64 s[14:15], s[4:5]
; %bb.147:
	v_mov_b32_e32 v27, 0
	v_or_b32_e32 v34, 0x10000, v2
	v_cmp_eq_u32_sdwa s[4:5], v2, v27 src0_sel:WORD_0 src1_sel:DWORD
	v_cndmask_b32_e64 v27, v34, v2, s[4:5]
; %bb.148:
	s_or_b64 exec, exec, s[14:15]
	v_sub_f32_e32 v2, v86, v87
	v_mul_f32_e32 v2, s28, v2
	s_mov_b32 s4, 0x7f800000
	v_and_b32_e32 v34, 0x7f800000, v2
	v_cmp_ne_u32_e64 s[4:5], s4, v34
                                        ; implicit-def: $vgpr34
	s_and_saveexec_b64 s[14:15], s[4:5]
	s_xor_b64 s[4:5], exec, s[14:15]
; %bb.149:
	v_bfe_u32 v34, v2, 16, 1
	s_movk_i32 s14, 0x7fff
	v_add3_u32 v34, v2, v34, s14
                                        ; implicit-def: $vgpr2
; %bb.150:
	s_andn2_saveexec_b64 s[14:15], s[4:5]
; %bb.151:
	v_mov_b32_e32 v34, 0
	v_or_b32_e32 v64, 0x10000, v2
	v_cmp_eq_u32_sdwa s[4:5], v2, v34 src0_sel:WORD_0 src1_sel:DWORD
	v_cndmask_b32_e64 v34, v64, v2, s[4:5]
; %bb.152:
	s_or_b64 exec, exec, s[14:15]
	v_sub_f32_e32 v2, v88, v89
	v_mul_f32_e32 v2, s28, v2
	s_mov_b32 s4, 0x7f800000
	v_and_b32_e32 v64, 0x7f800000, v2
	v_cmp_ne_u32_e64 s[4:5], s4, v64
                                        ; implicit-def: $vgpr64
	s_and_saveexec_b64 s[14:15], s[4:5]
	s_xor_b64 s[4:5], exec, s[14:15]
; %bb.153:
	v_bfe_u32 v64, v2, 16, 1
	s_movk_i32 s14, 0x7fff
	v_add3_u32 v64, v2, v64, s14
                                        ; implicit-def: $vgpr2
; %bb.154:
	s_andn2_saveexec_b64 s[14:15], s[4:5]
; %bb.155:
	v_mov_b32_e32 v64, 0
	v_or_b32_e32 v65, 0x10000, v2
	v_cmp_eq_u32_sdwa s[4:5], v2, v64 src0_sel:WORD_0 src1_sel:DWORD
	v_cndmask_b32_e64 v64, v65, v2, s[4:5]
; %bb.156:
	s_or_b64 exec, exec, s[14:15]
	v_sub_f32_e32 v2, v90, v91
	v_mul_f32_e32 v2, s28, v2
	s_mov_b32 s4, 0x7f800000
	v_and_b32_e32 v65, 0x7f800000, v2
	v_cmp_ne_u32_e64 s[4:5], s4, v65
                                        ; implicit-def: $vgpr65
	s_and_saveexec_b64 s[14:15], s[4:5]
	s_xor_b64 s[4:5], exec, s[14:15]
; %bb.157:
	v_bfe_u32 v65, v2, 16, 1
	s_movk_i32 s14, 0x7fff
	v_add3_u32 v65, v2, v65, s14
                                        ; implicit-def: $vgpr2
; %bb.158:
	s_andn2_saveexec_b64 s[14:15], s[4:5]
; %bb.159:
	v_mov_b32_e32 v65, 0
	v_or_b32_e32 v86, 0x10000, v2
	v_cmp_eq_u32_sdwa s[4:5], v2, v65 src0_sel:WORD_0 src1_sel:DWORD
	v_cndmask_b32_e64 v65, v86, v2, s[4:5]
; %bb.160:
	s_or_b64 exec, exec, s[14:15]
	v_sub_f32_e32 v2, v92, v93
	v_mul_f32_e32 v2, s28, v2
	s_mov_b32 s4, 0x7f800000
	v_and_b32_e32 v86, 0x7f800000, v2
	v_cmp_ne_u32_e64 s[4:5], s4, v86
                                        ; implicit-def: $vgpr86
	s_and_saveexec_b64 s[14:15], s[4:5]
	s_xor_b64 s[4:5], exec, s[14:15]
; %bb.161:
	v_bfe_u32 v86, v2, 16, 1
	s_movk_i32 s14, 0x7fff
	v_add3_u32 v86, v2, v86, s14
                                        ; implicit-def: $vgpr2
; %bb.162:
	s_andn2_saveexec_b64 s[14:15], s[4:5]
; %bb.163:
	v_mov_b32_e32 v86, 0
	v_or_b32_e32 v87, 0x10000, v2
	v_cmp_eq_u32_sdwa s[4:5], v2, v86 src0_sel:WORD_0 src1_sel:DWORD
	v_cndmask_b32_e64 v86, v87, v2, s[4:5]
; %bb.164:
	s_or_b64 exec, exec, s[14:15]
	v_sub_f32_e32 v2, v94, v95
	v_mul_f32_e32 v2, s28, v2
	s_mov_b32 s4, 0x7f800000
	v_and_b32_e32 v87, 0x7f800000, v2
	v_cmp_ne_u32_e64 s[4:5], s4, v87
                                        ; implicit-def: $vgpr87
	s_and_saveexec_b64 s[14:15], s[4:5]
	s_xor_b64 s[4:5], exec, s[14:15]
; %bb.165:
	v_bfe_u32 v87, v2, 16, 1
	s_movk_i32 s14, 0x7fff
	v_add3_u32 v87, v2, v87, s14
                                        ; implicit-def: $vgpr2
; %bb.166:
	s_andn2_saveexec_b64 s[14:15], s[4:5]
; %bb.167:
	v_mov_b32_e32 v87, 0
	v_or_b32_e32 v88, 0x10000, v2
	v_cmp_eq_u32_sdwa s[4:5], v2, v87 src0_sel:WORD_0 src1_sel:DWORD
	v_cndmask_b32_e64 v87, v88, v2, s[4:5]
; %bb.168:
	s_or_b64 exec, exec, s[14:15]
	v_sub_f32_e32 v2, v96, v97
	v_mul_f32_e32 v2, s28, v2
	s_mov_b32 s4, 0x7f800000
	v_and_b32_e32 v88, 0x7f800000, v2
	v_cmp_ne_u32_e64 s[4:5], s4, v88
                                        ; implicit-def: $vgpr88
	s_and_saveexec_b64 s[14:15], s[4:5]
	s_xor_b64 s[4:5], exec, s[14:15]
; %bb.169:
	v_bfe_u32 v88, v2, 16, 1
	s_movk_i32 s14, 0x7fff
	v_add3_u32 v88, v2, v88, s14
                                        ; implicit-def: $vgpr2
; %bb.170:
	s_andn2_saveexec_b64 s[14:15], s[4:5]
; %bb.171:
	v_mov_b32_e32 v88, 0
	v_or_b32_e32 v89, 0x10000, v2
	v_cmp_eq_u32_sdwa s[4:5], v2, v88 src0_sel:WORD_0 src1_sel:DWORD
	v_cndmask_b32_e64 v88, v89, v2, s[4:5]
; %bb.172:
	s_or_b64 exec, exec, s[14:15]
	v_sub_f32_e32 v2, v98, v99
	v_mul_f32_e32 v2, s28, v2
	s_mov_b32 s4, 0x7f800000
	v_and_b32_e32 v89, 0x7f800000, v2
	v_cmp_ne_u32_e64 s[4:5], s4, v89
                                        ; implicit-def: $vgpr89
	s_and_saveexec_b64 s[14:15], s[4:5]
	s_xor_b64 s[4:5], exec, s[14:15]
; %bb.173:
	v_bfe_u32 v89, v2, 16, 1
	s_movk_i32 s14, 0x7fff
	v_add3_u32 v89, v2, v89, s14
                                        ; implicit-def: $vgpr2
; %bb.174:
	s_andn2_saveexec_b64 s[14:15], s[4:5]
; %bb.175:
	v_mov_b32_e32 v89, 0
	v_or_b32_e32 v90, 0x10000, v2
	v_cmp_eq_u32_sdwa s[4:5], v2, v89 src0_sel:WORD_0 src1_sel:DWORD
	v_cndmask_b32_e64 v89, v90, v2, s[4:5]
; %bb.176:
	s_or_b64 exec, exec, s[14:15]
	v_sub_f32_e32 v2, v28, v48
	v_mul_f32_e32 v2, s28, v2
	s_mov_b32 s4, 0x7f800000
	v_and_b32_e32 v28, 0x7f800000, v2
	v_cmp_ne_u32_e64 s[4:5], s4, v28
                                        ; implicit-def: $vgpr28
	s_and_saveexec_b64 s[14:15], s[4:5]
	s_xor_b64 s[4:5], exec, s[14:15]
; %bb.177:
	v_bfe_u32 v28, v2, 16, 1
	s_movk_i32 s14, 0x7fff
	v_add3_u32 v28, v2, v28, s14
                                        ; implicit-def: $vgpr2
; %bb.178:
	s_andn2_saveexec_b64 s[14:15], s[4:5]
; %bb.179:
	v_mov_b32_e32 v28, 0
	v_or_b32_e32 v48, 0x10000, v2
	v_cmp_eq_u32_sdwa s[4:5], v2, v28 src0_sel:WORD_0 src1_sel:DWORD
	v_cndmask_b32_e64 v28, v48, v2, s[4:5]
; %bb.180:
	s_or_b64 exec, exec, s[14:15]
	v_sub_f32_e32 v2, v29, v49
	v_mul_f32_e32 v2, s28, v2
	s_mov_b32 s4, 0x7f800000
	v_and_b32_e32 v29, 0x7f800000, v2
	v_cmp_ne_u32_e64 s[4:5], s4, v29
                                        ; implicit-def: $vgpr29
	s_and_saveexec_b64 s[14:15], s[4:5]
	s_xor_b64 s[4:5], exec, s[14:15]
; %bb.181:
	v_bfe_u32 v29, v2, 16, 1
	s_movk_i32 s14, 0x7fff
	v_add3_u32 v29, v2, v29, s14
                                        ; implicit-def: $vgpr2
; %bb.182:
	s_andn2_saveexec_b64 s[14:15], s[4:5]
; %bb.183:
	v_mov_b32_e32 v29, 0
	v_or_b32_e32 v48, 0x10000, v2
	v_cmp_eq_u32_sdwa s[4:5], v2, v29 src0_sel:WORD_0 src1_sel:DWORD
	v_cndmask_b32_e64 v29, v48, v2, s[4:5]
; %bb.184:
	s_or_b64 exec, exec, s[14:15]
	v_sub_f32_e32 v2, v30, v50
	v_mul_f32_e32 v2, s28, v2
	s_mov_b32 s4, 0x7f800000
	v_and_b32_e32 v30, 0x7f800000, v2
	v_cmp_ne_u32_e64 s[4:5], s4, v30
                                        ; implicit-def: $vgpr30
	s_and_saveexec_b64 s[14:15], s[4:5]
	s_xor_b64 s[4:5], exec, s[14:15]
; %bb.185:
	v_bfe_u32 v30, v2, 16, 1
	s_movk_i32 s14, 0x7fff
	v_add3_u32 v30, v2, v30, s14
                                        ; implicit-def: $vgpr2
; %bb.186:
	s_andn2_saveexec_b64 s[14:15], s[4:5]
; %bb.187:
	v_mov_b32_e32 v30, 0
	v_or_b32_e32 v48, 0x10000, v2
	v_cmp_eq_u32_sdwa s[4:5], v2, v30 src0_sel:WORD_0 src1_sel:DWORD
	v_cndmask_b32_e64 v30, v48, v2, s[4:5]
; %bb.188:
	s_or_b64 exec, exec, s[14:15]
	v_sub_f32_e32 v2, v31, v51
	v_mul_f32_e32 v2, s28, v2
	s_mov_b32 s4, 0x7f800000
	v_and_b32_e32 v31, 0x7f800000, v2
	v_cmp_ne_u32_e64 s[4:5], s4, v31
                                        ; implicit-def: $vgpr31
	s_and_saveexec_b64 s[14:15], s[4:5]
	s_xor_b64 s[4:5], exec, s[14:15]
; %bb.189:
	v_bfe_u32 v31, v2, 16, 1
	s_movk_i32 s14, 0x7fff
	v_add3_u32 v31, v2, v31, s14
                                        ; implicit-def: $vgpr2
; %bb.190:
	s_andn2_saveexec_b64 s[14:15], s[4:5]
; %bb.191:
	v_mov_b32_e32 v31, 0
	v_or_b32_e32 v48, 0x10000, v2
	v_cmp_eq_u32_sdwa s[4:5], v2, v31 src0_sel:WORD_0 src1_sel:DWORD
	v_cndmask_b32_e64 v31, v48, v2, s[4:5]
; %bb.192:
	s_or_b64 exec, exec, s[14:15]
	v_sub_f32_e32 v2, v32, v36
	v_mul_f32_e32 v2, s28, v2
	s_mov_b32 s4, 0x7f800000
	v_and_b32_e32 v32, 0x7f800000, v2
	v_cmp_ne_u32_e64 s[4:5], s4, v32
                                        ; implicit-def: $vgpr32
	s_and_saveexec_b64 s[14:15], s[4:5]
	s_xor_b64 s[4:5], exec, s[14:15]
; %bb.193:
	v_bfe_u32 v32, v2, 16, 1
	s_movk_i32 s14, 0x7fff
	v_add3_u32 v32, v2, v32, s14
                                        ; implicit-def: $vgpr2
; %bb.194:
	s_andn2_saveexec_b64 s[14:15], s[4:5]
; %bb.195:
	v_mov_b32_e32 v32, 0
	v_or_b32_e32 v36, 0x10000, v2
	v_cmp_eq_u32_sdwa s[4:5], v2, v32 src0_sel:WORD_0 src1_sel:DWORD
	v_cndmask_b32_e64 v32, v36, v2, s[4:5]
; %bb.196:
	s_or_b64 exec, exec, s[14:15]
	v_sub_f32_e32 v2, v33, v37
	v_mul_f32_e32 v2, s28, v2
	s_mov_b32 s4, 0x7f800000
	v_and_b32_e32 v33, 0x7f800000, v2
	v_cmp_ne_u32_e64 s[4:5], s4, v33
                                        ; implicit-def: $vgpr33
	s_and_saveexec_b64 s[14:15], s[4:5]
	s_xor_b64 s[4:5], exec, s[14:15]
; %bb.197:
	v_bfe_u32 v33, v2, 16, 1
	s_movk_i32 s14, 0x7fff
	v_add3_u32 v33, v2, v33, s14
                                        ; implicit-def: $vgpr2
; %bb.198:
	s_andn2_saveexec_b64 s[14:15], s[4:5]
; %bb.199:
	v_mov_b32_e32 v33, 0
	v_or_b32_e32 v36, 0x10000, v2
	v_cmp_eq_u32_sdwa s[4:5], v2, v33 src0_sel:WORD_0 src1_sel:DWORD
	v_cndmask_b32_e64 v33, v36, v2, s[4:5]
; %bb.200:
	s_or_b64 exec, exec, s[14:15]
	v_sub_f32_e32 v2, v38, v40
	v_mul_f32_e32 v2, s28, v2
	s_mov_b32 s4, 0x7f800000
	v_and_b32_e32 v36, 0x7f800000, v2
	v_cmp_ne_u32_e64 s[4:5], s4, v36
                                        ; implicit-def: $vgpr36
	s_and_saveexec_b64 s[14:15], s[4:5]
	s_xor_b64 s[4:5], exec, s[14:15]
; %bb.201:
	v_bfe_u32 v36, v2, 16, 1
	s_movk_i32 s14, 0x7fff
	v_add3_u32 v36, v2, v36, s14
                                        ; implicit-def: $vgpr2
; %bb.202:
	s_andn2_saveexec_b64 s[14:15], s[4:5]
; %bb.203:
	v_mov_b32_e32 v36, 0
	v_or_b32_e32 v37, 0x10000, v2
	v_cmp_eq_u32_sdwa s[4:5], v2, v36 src0_sel:WORD_0 src1_sel:DWORD
	v_cndmask_b32_e64 v36, v37, v2, s[4:5]
; %bb.204:
	s_or_b64 exec, exec, s[14:15]
	v_sub_f32_e32 v2, v35, v39
	v_mul_f32_e32 v37, s28, v2
	s_mov_b32 s4, 0x7f800000
	v_and_b32_e32 v2, 0x7f800000, v37
	v_cmp_ne_u32_e64 s[4:5], s4, v2
                                        ; implicit-def: $vgpr35
	s_and_saveexec_b64 s[14:15], s[4:5]
	s_xor_b64 s[4:5], exec, s[14:15]
; %bb.205:
	v_bfe_u32 v2, v37, 16, 1
	s_movk_i32 s14, 0x7fff
	v_add3_u32 v35, v37, v2, s14
                                        ; implicit-def: $vgpr37
; %bb.206:
	s_or_saveexec_b64 s[14:15], s[4:5]
	v_mov_b32_e32 v2, v1
	s_xor_b64 exec, exec, s[14:15]
; %bb.207:
	v_mov_b32_e32 v1, 0
	v_or_b32_e32 v35, 0x10000, v37
	v_cmp_eq_u32_sdwa s[4:5], v37, v1 src0_sel:WORD_0 src1_sel:DWORD
	v_cndmask_b32_e64 v35, v35, v37, s[4:5]
; %bb.208:
	s_or_b64 exec, exec, s[14:15]
	v_sub_f32_e32 v0, v2, v0
	v_mul_f32_e32 v1, s28, v0
	s_mov_b32 s4, 0x7f800000
	v_and_b32_e32 v0, 0x7f800000, v1
	v_cmp_ne_u32_e64 s[4:5], s4, v0
                                        ; implicit-def: $vgpr0
	s_and_saveexec_b64 s[14:15], s[4:5]
	s_xor_b64 s[4:5], exec, s[14:15]
; %bb.209:
	v_bfe_u32 v0, v1, 16, 1
	s_movk_i32 s14, 0x7fff
	v_add3_u32 v0, v1, v0, s14
                                        ; implicit-def: $vgpr1
; %bb.210:
	s_andn2_saveexec_b64 s[14:15], s[4:5]
; %bb.211:
	v_mov_b32_e32 v0, 0
	v_or_b32_e32 v2, 0x10000, v1
	v_cmp_eq_u32_sdwa s[4:5], v1, v0 src0_sel:WORD_0 src1_sel:DWORD
	v_cndmask_b32_e64 v0, v2, v1, s[4:5]
; %bb.212:
	s_or_b64 exec, exec, s[14:15]
	v_sub_f32_e32 v1, v41, v42
	v_mul_f32_e32 v2, s28, v1
	s_mov_b32 s4, 0x7f800000
	v_and_b32_e32 v1, 0x7f800000, v2
	v_cmp_ne_u32_e64 s[4:5], s4, v1
                                        ; implicit-def: $vgpr1
	s_and_saveexec_b64 s[14:15], s[4:5]
	s_xor_b64 s[4:5], exec, s[14:15]
; %bb.213:
	v_bfe_u32 v1, v2, 16, 1
	s_movk_i32 s14, 0x7fff
	v_add3_u32 v1, v2, v1, s14
                                        ; implicit-def: $vgpr2
; %bb.214:
	s_andn2_saveexec_b64 s[14:15], s[4:5]
; %bb.215:
	v_mov_b32_e32 v1, 0
	v_or_b32_e32 v37, 0x10000, v2
	v_cmp_eq_u32_sdwa s[4:5], v2, v1 src0_sel:WORD_0 src1_sel:DWORD
	v_cndmask_b32_e64 v1, v37, v2, s[4:5]
; %bb.216:
	s_or_b64 exec, exec, s[14:15]
	v_sub_f32_e32 v2, v43, v44
	v_mul_f32_e32 v37, s28, v2
	s_mov_b32 s4, 0x7f800000
	v_and_b32_e32 v2, 0x7f800000, v37
	v_cmp_ne_u32_e64 s[4:5], s4, v2
                                        ; implicit-def: $vgpr2
	s_and_saveexec_b64 s[14:15], s[4:5]
	s_xor_b64 s[4:5], exec, s[14:15]
; %bb.217:
	v_bfe_u32 v2, v37, 16, 1
	s_movk_i32 s14, 0x7fff
	v_add3_u32 v2, v37, v2, s14
                                        ; implicit-def: $vgpr37
; %bb.218:
	s_andn2_saveexec_b64 s[14:15], s[4:5]
; %bb.219:
	v_mov_b32_e32 v2, 0
	v_or_b32_e32 v38, 0x10000, v37
	v_cmp_eq_u32_sdwa s[4:5], v37, v2 src0_sel:WORD_0 src1_sel:DWORD
	v_cndmask_b32_e64 v2, v38, v37, s[4:5]
; %bb.220:
	s_or_b64 exec, exec, s[14:15]
	v_sub_f32_e32 v37, v45, v46
	v_mul_f32_e32 v38, s28, v37
	s_mov_b32 s4, 0x7f800000
	v_and_b32_e32 v37, 0x7f800000, v38
	v_cmp_ne_u32_e64 s[4:5], s4, v37
                                        ; implicit-def: $vgpr37
	s_and_saveexec_b64 s[14:15], s[4:5]
	s_xor_b64 s[4:5], exec, s[14:15]
; %bb.221:
	v_bfe_u32 v37, v38, 16, 1
	s_movk_i32 s14, 0x7fff
	v_add3_u32 v37, v38, v37, s14
                                        ; implicit-def: $vgpr38
; %bb.222:
	s_andn2_saveexec_b64 s[14:15], s[4:5]
; %bb.223:
	v_mov_b32_e32 v37, 0
	v_or_b32_e32 v39, 0x10000, v38
	v_cmp_eq_u32_sdwa s[4:5], v38, v37 src0_sel:WORD_0 src1_sel:DWORD
	v_cndmask_b32_e64 v37, v39, v38, s[4:5]
; %bb.224:
	s_or_b64 exec, exec, s[14:15]
	v_sub_f32_e32 v38, v47, v52
	v_mul_f32_e32 v39, s28, v38
	s_mov_b32 s4, 0x7f800000
	v_and_b32_e32 v38, 0x7f800000, v39
	v_cmp_ne_u32_e64 s[4:5], s4, v38
                                        ; implicit-def: $vgpr38
	s_and_saveexec_b64 s[14:15], s[4:5]
	s_xor_b64 s[4:5], exec, s[14:15]
; %bb.225:
	v_bfe_u32 v38, v39, 16, 1
	s_movk_i32 s14, 0x7fff
	v_add3_u32 v38, v39, v38, s14
                                        ; implicit-def: $vgpr39
; %bb.226:
	s_andn2_saveexec_b64 s[14:15], s[4:5]
; %bb.227:
	v_mov_b32_e32 v38, 0
	v_or_b32_e32 v40, 0x10000, v39
	v_cmp_eq_u32_sdwa s[4:5], v39, v38 src0_sel:WORD_0 src1_sel:DWORD
	v_cndmask_b32_e64 v38, v40, v39, s[4:5]
; %bb.228:
	s_or_b64 exec, exec, s[14:15]
	v_sub_f32_e32 v39, v53, v54
	v_mul_f32_e32 v40, s28, v39
	s_mov_b32 s4, 0x7f800000
	v_and_b32_e32 v39, 0x7f800000, v40
	v_cmp_ne_u32_e64 s[4:5], s4, v39
                                        ; implicit-def: $vgpr39
	s_and_saveexec_b64 s[14:15], s[4:5]
	s_xor_b64 s[4:5], exec, s[14:15]
; %bb.229:
	v_bfe_u32 v39, v40, 16, 1
	s_movk_i32 s14, 0x7fff
	v_add3_u32 v39, v40, v39, s14
                                        ; implicit-def: $vgpr40
; %bb.230:
	s_andn2_saveexec_b64 s[14:15], s[4:5]
; %bb.231:
	v_mov_b32_e32 v39, 0
	v_or_b32_e32 v41, 0x10000, v40
	v_cmp_eq_u32_sdwa s[4:5], v40, v39 src0_sel:WORD_0 src1_sel:DWORD
	v_cndmask_b32_e64 v39, v41, v40, s[4:5]
; %bb.232:
	s_or_b64 exec, exec, s[14:15]
	v_sub_f32_e32 v40, v55, v56
	v_mul_f32_e32 v41, s28, v40
	s_mov_b32 s4, 0x7f800000
	v_and_b32_e32 v40, 0x7f800000, v41
	v_cmp_ne_u32_e64 s[4:5], s4, v40
                                        ; implicit-def: $vgpr40
	s_and_saveexec_b64 s[14:15], s[4:5]
	s_xor_b64 s[4:5], exec, s[14:15]
; %bb.233:
	v_bfe_u32 v40, v41, 16, 1
	s_movk_i32 s14, 0x7fff
	v_add3_u32 v40, v41, v40, s14
                                        ; implicit-def: $vgpr41
; %bb.234:
	s_andn2_saveexec_b64 s[14:15], s[4:5]
; %bb.235:
	v_mov_b32_e32 v40, 0
	v_or_b32_e32 v42, 0x10000, v41
	v_cmp_eq_u32_sdwa s[4:5], v41, v40 src0_sel:WORD_0 src1_sel:DWORD
	v_cndmask_b32_e64 v40, v42, v41, s[4:5]
; %bb.236:
	s_or_b64 exec, exec, s[14:15]
	v_sub_f32_e32 v41, v57, v58
	v_mul_f32_e32 v42, s28, v41
	s_mov_b32 s4, 0x7f800000
	v_and_b32_e32 v41, 0x7f800000, v42
	v_cmp_ne_u32_e64 s[4:5], s4, v41
                                        ; implicit-def: $vgpr41
	s_and_saveexec_b64 s[14:15], s[4:5]
	s_xor_b64 s[4:5], exec, s[14:15]
; %bb.237:
	v_bfe_u32 v41, v42, 16, 1
	s_movk_i32 s14, 0x7fff
	v_add3_u32 v41, v42, v41, s14
                                        ; implicit-def: $vgpr42
; %bb.238:
	s_andn2_saveexec_b64 s[14:15], s[4:5]
; %bb.239:
	v_mov_b32_e32 v41, 0
	v_or_b32_e32 v43, 0x10000, v42
	v_cmp_eq_u32_sdwa s[4:5], v42, v41 src0_sel:WORD_0 src1_sel:DWORD
	v_cndmask_b32_e64 v41, v43, v42, s[4:5]
; %bb.240:
	s_or_b64 exec, exec, s[14:15]
	v_sub_f32_e32 v42, v59, v60
	v_mul_f32_e32 v43, s28, v42
	s_mov_b32 s4, 0x7f800000
	v_and_b32_e32 v42, 0x7f800000, v43
	v_cmp_ne_u32_e64 s[4:5], s4, v42
                                        ; implicit-def: $vgpr42
	s_and_saveexec_b64 s[14:15], s[4:5]
	s_xor_b64 s[4:5], exec, s[14:15]
; %bb.241:
	v_bfe_u32 v42, v43, 16, 1
	s_movk_i32 s14, 0x7fff
	v_add3_u32 v42, v43, v42, s14
                                        ; implicit-def: $vgpr43
; %bb.242:
	s_andn2_saveexec_b64 s[14:15], s[4:5]
; %bb.243:
	v_mov_b32_e32 v42, 0
	v_or_b32_e32 v44, 0x10000, v43
	v_cmp_eq_u32_sdwa s[4:5], v43, v42 src0_sel:WORD_0 src1_sel:DWORD
	v_cndmask_b32_e64 v42, v44, v43, s[4:5]
; %bb.244:
	s_or_b64 exec, exec, s[14:15]
	v_sub_f32_e32 v43, v61, v62
	v_mul_f32_e32 v44, s28, v43
	s_mov_b32 s4, 0x7f800000
	v_and_b32_e32 v43, 0x7f800000, v44
	v_cmp_ne_u32_e64 s[4:5], s4, v43
                                        ; implicit-def: $vgpr43
	s_and_saveexec_b64 s[14:15], s[4:5]
	s_xor_b64 s[4:5], exec, s[14:15]
; %bb.245:
	v_bfe_u32 v43, v44, 16, 1
	s_movk_i32 s14, 0x7fff
	v_add3_u32 v43, v44, v43, s14
                                        ; implicit-def: $vgpr44
; %bb.246:
	s_andn2_saveexec_b64 s[14:15], s[4:5]
; %bb.247:
	v_mov_b32_e32 v43, 0
	v_or_b32_e32 v45, 0x10000, v44
	v_cmp_eq_u32_sdwa s[4:5], v44, v43 src0_sel:WORD_0 src1_sel:DWORD
	v_cndmask_b32_e64 v43, v45, v44, s[4:5]
; %bb.248:
	s_or_b64 exec, exec, s[14:15]
	v_sub_f32_e32 v44, v63, v66
	v_mul_f32_e32 v45, s28, v44
	s_mov_b32 s4, 0x7f800000
	v_and_b32_e32 v44, 0x7f800000, v45
	v_cmp_ne_u32_e64 s[4:5], s4, v44
                                        ; implicit-def: $vgpr44
	s_and_saveexec_b64 s[14:15], s[4:5]
	s_xor_b64 s[4:5], exec, s[14:15]
; %bb.249:
	v_bfe_u32 v44, v45, 16, 1
	s_movk_i32 s14, 0x7fff
	v_add3_u32 v44, v45, v44, s14
                                        ; implicit-def: $vgpr45
; %bb.250:
	s_andn2_saveexec_b64 s[14:15], s[4:5]
; %bb.251:
	v_mov_b32_e32 v44, 0
	v_or_b32_e32 v46, 0x10000, v45
	v_cmp_eq_u32_sdwa s[4:5], v45, v44 src0_sel:WORD_0 src1_sel:DWORD
	v_cndmask_b32_e64 v44, v46, v45, s[4:5]
; %bb.252:
	s_or_b64 exec, exec, s[14:15]
	v_sub_f32_e32 v45, v67, v68
	v_mul_f32_e32 v46, s28, v45
	s_mov_b32 s4, 0x7f800000
	v_and_b32_e32 v45, 0x7f800000, v46
	v_cmp_ne_u32_e64 s[4:5], s4, v45
                                        ; implicit-def: $vgpr45
	s_and_saveexec_b64 s[14:15], s[4:5]
	s_xor_b64 s[4:5], exec, s[14:15]
; %bb.253:
	v_bfe_u32 v45, v46, 16, 1
	s_movk_i32 s14, 0x7fff
	v_add3_u32 v45, v46, v45, s14
                                        ; implicit-def: $vgpr46
; %bb.254:
	s_andn2_saveexec_b64 s[14:15], s[4:5]
; %bb.255:
	v_mov_b32_e32 v45, 0
	v_or_b32_e32 v47, 0x10000, v46
	v_cmp_eq_u32_sdwa s[4:5], v46, v45 src0_sel:WORD_0 src1_sel:DWORD
	v_cndmask_b32_e64 v45, v47, v46, s[4:5]
; %bb.256:
	s_or_b64 exec, exec, s[14:15]
	v_sub_f32_e32 v46, v69, v100
	v_mul_f32_e32 v47, s28, v46
	s_mov_b32 s4, 0x7f800000
	v_and_b32_e32 v46, 0x7f800000, v47
	v_cmp_ne_u32_e64 s[4:5], s4, v46
                                        ; implicit-def: $vgpr46
	s_and_saveexec_b64 s[14:15], s[4:5]
	s_xor_b64 s[4:5], exec, s[14:15]
; %bb.257:
	v_bfe_u32 v46, v47, 16, 1
	s_movk_i32 s14, 0x7fff
	v_add3_u32 v46, v47, v46, s14
                                        ; implicit-def: $vgpr47
; %bb.258:
	s_andn2_saveexec_b64 s[14:15], s[4:5]
; %bb.259:
	v_mov_b32_e32 v46, 0
	v_or_b32_e32 v48, 0x10000, v47
	v_cmp_eq_u32_sdwa s[4:5], v47, v46 src0_sel:WORD_0 src1_sel:DWORD
	v_cndmask_b32_e64 v46, v48, v47, s[4:5]
; %bb.260:
	s_or_b64 exec, exec, s[14:15]
	v_sub_f32_e32 v47, v101, v102
	v_mul_f32_e32 v48, s28, v47
	s_mov_b32 s4, 0x7f800000
	v_and_b32_e32 v47, 0x7f800000, v48
	v_cmp_ne_u32_e64 s[4:5], s4, v47
                                        ; implicit-def: $vgpr47
	s_and_saveexec_b64 s[14:15], s[4:5]
	s_xor_b64 s[4:5], exec, s[14:15]
; %bb.261:
	v_bfe_u32 v47, v48, 16, 1
	s_movk_i32 s14, 0x7fff
	v_add3_u32 v47, v48, v47, s14
                                        ; implicit-def: $vgpr48
; %bb.262:
	s_andn2_saveexec_b64 s[14:15], s[4:5]
; %bb.263:
	v_mov_b32_e32 v47, 0
	v_or_b32_e32 v49, 0x10000, v48
	v_cmp_eq_u32_sdwa s[4:5], v48, v47 src0_sel:WORD_0 src1_sel:DWORD
	v_cndmask_b32_e64 v47, v49, v48, s[4:5]
; %bb.264:
	s_or_b64 exec, exec, s[14:15]
	v_sub_f32_e32 v48, v103, v104
	v_mul_f32_e32 v49, s28, v48
	s_mov_b32 s4, 0x7f800000
	v_and_b32_e32 v48, 0x7f800000, v49
	v_cmp_ne_u32_e64 s[4:5], s4, v48
                                        ; implicit-def: $vgpr48
	s_and_saveexec_b64 s[14:15], s[4:5]
	s_xor_b64 s[4:5], exec, s[14:15]
; %bb.265:
	v_bfe_u32 v48, v49, 16, 1
	s_movk_i32 s14, 0x7fff
	v_add3_u32 v48, v49, v48, s14
                                        ; implicit-def: $vgpr49
; %bb.266:
	s_andn2_saveexec_b64 s[14:15], s[4:5]
; %bb.267:
	v_mov_b32_e32 v48, 0
	v_or_b32_e32 v50, 0x10000, v49
	v_cmp_eq_u32_sdwa s[4:5], v49, v48 src0_sel:WORD_0 src1_sel:DWORD
	v_cndmask_b32_e64 v48, v50, v49, s[4:5]
; %bb.268:
	s_or_b64 exec, exec, s[14:15]
	v_sub_f32_e32 v49, v105, v106
	v_mul_f32_e32 v50, s28, v49
	s_mov_b32 s4, 0x7f800000
	v_and_b32_e32 v49, 0x7f800000, v50
	v_cmp_ne_u32_e64 s[4:5], s4, v49
                                        ; implicit-def: $vgpr49
	s_and_saveexec_b64 s[14:15], s[4:5]
	s_xor_b64 s[4:5], exec, s[14:15]
; %bb.269:
	v_bfe_u32 v49, v50, 16, 1
	s_movk_i32 s14, 0x7fff
	v_add3_u32 v49, v50, v49, s14
                                        ; implicit-def: $vgpr50
; %bb.270:
	s_andn2_saveexec_b64 s[14:15], s[4:5]
; %bb.271:
	v_mov_b32_e32 v49, 0
	v_or_b32_e32 v51, 0x10000, v50
	v_cmp_eq_u32_sdwa s[4:5], v50, v49 src0_sel:WORD_0 src1_sel:DWORD
	v_cndmask_b32_e64 v49, v51, v50, s[4:5]
; %bb.272:
	s_or_b64 exec, exec, s[14:15]
	s_mul_i32 s4, s30, s7
	s_mul_hi_u32 s5, s30, s6
	s_add_i32 s4, s5, s4
	s_mul_i32 s5, s31, s6
	s_add_i32 s5, s4, s5
	s_mul_i32 s4, s30, s6
	s_lshl_b64 s[4:5], s[4:5], 1
	s_add_u32 s4, s38, s4
	s_addc_u32 s5, s39, s5
	s_and_saveexec_b64 s[6:7], vcc
	s_cbranch_execnz .LBB37_281
; %bb.273:
	s_or_b64 exec, exec, s[6:7]
	s_and_saveexec_b64 s[6:7], s[0:1]
	s_cbranch_execnz .LBB37_282
.LBB37_274:
	s_or_b64 exec, exec, s[6:7]
	s_and_saveexec_b64 s[0:1], s[2:3]
	s_cbranch_execnz .LBB37_283
.LBB37_275:
	s_or_b64 exec, exec, s[0:1]
	s_and_saveexec_b64 s[0:1], s[24:25]
	s_cbranch_execnz .LBB37_284
.LBB37_276:
	s_or_b64 exec, exec, s[0:1]
	s_and_saveexec_b64 s[0:1], s[26:27]
	s_cbranch_execnz .LBB37_285
.LBB37_277:
	s_or_b64 exec, exec, s[0:1]
	s_and_saveexec_b64 s[0:1], s[8:9]
	s_cbranch_execnz .LBB37_286
.LBB37_278:
	s_or_b64 exec, exec, s[0:1]
	s_and_saveexec_b64 s[0:1], s[10:11]
	s_cbranch_execnz .LBB37_287
.LBB37_279:
	s_or_b64 exec, exec, s[0:1]
	s_and_saveexec_b64 s[0:1], s[12:13]
	s_cbranch_execnz .LBB37_288
.LBB37_280:
	s_endpgm
.LBB37_281:
	s_mov_b32 s14, 0x7060302
	v_perm_b32 v53, v85, v84, s14
	v_perm_b32 v52, v83, v82, s14
	v_perm_b32 v51, v81, v80, s14
	v_perm_b32 v50, v79, v78, s14
	global_store_dwordx4 v70, v[50:53], s[4:5]
	s_or_b64 exec, exec, s[6:7]
	s_and_saveexec_b64 s[6:7], s[0:1]
	s_cbranch_execz .LBB37_274
.LBB37_282:
	s_mov_b32 s0, 0x7060302
	v_perm_b32 v53, v3, v6, s0
	v_perm_b32 v52, v5, v4, s0
	;; [unrolled: 1-line block ×4, first 2 shown]
	global_store_dwordx4 v71, v[50:53], s[4:5]
	s_or_b64 exec, exec, s[6:7]
	s_and_saveexec_b64 s[0:1], s[2:3]
	s_cbranch_execz .LBB37_275
.LBB37_283:
	s_mov_b32 s2, 0x7060302
	v_perm_b32 v13, v14, v13, s2
	v_perm_b32 v12, v12, v11, s2
	;; [unrolled: 1-line block ×4, first 2 shown]
	global_store_dwordx4 v72, v[10:13], s[4:5]
	s_or_b64 exec, exec, s[0:1]
	s_and_saveexec_b64 s[0:1], s[24:25]
	s_cbranch_execz .LBB37_276
.LBB37_284:
	s_mov_b32 s2, 0x7060302
	v_perm_b32 v7, v26, v25, s2
	v_perm_b32 v6, v24, v23, s2
	;; [unrolled: 1-line block ×4, first 2 shown]
	global_store_dwordx4 v73, v[4:7], s[4:5]
	s_or_b64 exec, exec, s[0:1]
	s_and_saveexec_b64 s[0:1], s[26:27]
	s_cbranch_execz .LBB37_277
.LBB37_285:
	s_mov_b32 s2, 0x7060302
	v_perm_b32 v7, v89, v88, s2
	v_perm_b32 v6, v87, v86, s2
	;; [unrolled: 1-line block ×4, first 2 shown]
	global_store_dwordx4 v74, v[4:7], s[4:5]
	s_or_b64 exec, exec, s[0:1]
	s_and_saveexec_b64 s[0:1], s[8:9]
	s_cbranch_execz .LBB37_278
.LBB37_286:
	s_mov_b32 s2, 0x7060302
	v_perm_b32 v7, v35, v36, s2
	v_perm_b32 v6, v33, v32, s2
	;; [unrolled: 1-line block ×4, first 2 shown]
	global_store_dwordx4 v75, v[4:7], s[4:5]
	s_or_b64 exec, exec, s[0:1]
	s_and_saveexec_b64 s[0:1], s[10:11]
	s_cbranch_execz .LBB37_279
.LBB37_287:
	s_mov_b32 s2, 0x7060302
	v_perm_b32 v5, v41, v40, s2
	v_perm_b32 v4, v39, v38, s2
	v_perm_b32 v3, v37, v2, s2
	v_perm_b32 v2, v1, v0, s2
	global_store_dwordx4 v76, v[2:5], s[4:5]
	s_or_b64 exec, exec, s[0:1]
	s_and_saveexec_b64 s[0:1], s[12:13]
	s_cbranch_execz .LBB37_280
.LBB37_288:
	s_mov_b32 s0, 0x7060302
	v_perm_b32 v3, v49, v48, s0
	v_perm_b32 v2, v47, v46, s0
	;; [unrolled: 1-line block ×4, first 2 shown]
	global_store_dwordx4 v77, v[0:3], s[4:5]
	s_endpgm
	.section	.rodata,"a",@progbits
	.p2align	6, 0x0
	.amdhsa_kernel _Z30fast_hadamard_transform_kernelI37fast_hadamard_transform_kernel_traitsILi256ELi14E14__hip_bfloat16EEv18HadamardParamsBase
		.amdhsa_group_segment_fixed_size 0
		.amdhsa_private_segment_fixed_size 0
		.amdhsa_kernarg_size 312
		.amdhsa_user_sgpr_count 6
		.amdhsa_user_sgpr_private_segment_buffer 1
		.amdhsa_user_sgpr_dispatch_ptr 0
		.amdhsa_user_sgpr_queue_ptr 0
		.amdhsa_user_sgpr_kernarg_segment_ptr 1
		.amdhsa_user_sgpr_dispatch_id 0
		.amdhsa_user_sgpr_flat_scratch_init 0
		.amdhsa_user_sgpr_kernarg_preload_length 0
		.amdhsa_user_sgpr_kernarg_preload_offset 0
		.amdhsa_user_sgpr_private_segment_size 0
		.amdhsa_uses_dynamic_stack 0
		.amdhsa_system_sgpr_private_segment_wavefront_offset 0
		.amdhsa_system_sgpr_workgroup_id_x 1
		.amdhsa_system_sgpr_workgroup_id_y 0
		.amdhsa_system_sgpr_workgroup_id_z 0
		.amdhsa_system_sgpr_workgroup_info 0
		.amdhsa_system_vgpr_workitem_id 0
		.amdhsa_next_free_vgpr 149
		.amdhsa_next_free_sgpr 40
		.amdhsa_accum_offset 152
		.amdhsa_reserve_vcc 1
		.amdhsa_reserve_flat_scratch 0
		.amdhsa_float_round_mode_32 0
		.amdhsa_float_round_mode_16_64 0
		.amdhsa_float_denorm_mode_32 3
		.amdhsa_float_denorm_mode_16_64 3
		.amdhsa_dx10_clamp 1
		.amdhsa_ieee_mode 1
		.amdhsa_fp16_overflow 0
		.amdhsa_tg_split 0
		.amdhsa_exception_fp_ieee_invalid_op 0
		.amdhsa_exception_fp_denorm_src 0
		.amdhsa_exception_fp_ieee_div_zero 0
		.amdhsa_exception_fp_ieee_overflow 0
		.amdhsa_exception_fp_ieee_underflow 0
		.amdhsa_exception_fp_ieee_inexact 0
		.amdhsa_exception_int_div_zero 0
	.end_amdhsa_kernel
	.section	.text._Z30fast_hadamard_transform_kernelI37fast_hadamard_transform_kernel_traitsILi256ELi14E14__hip_bfloat16EEv18HadamardParamsBase,"axG",@progbits,_Z30fast_hadamard_transform_kernelI37fast_hadamard_transform_kernel_traitsILi256ELi14E14__hip_bfloat16EEv18HadamardParamsBase,comdat
.Lfunc_end37:
	.size	_Z30fast_hadamard_transform_kernelI37fast_hadamard_transform_kernel_traitsILi256ELi14E14__hip_bfloat16EEv18HadamardParamsBase, .Lfunc_end37-_Z30fast_hadamard_transform_kernelI37fast_hadamard_transform_kernel_traitsILi256ELi14E14__hip_bfloat16EEv18HadamardParamsBase
                                        ; -- End function
	.section	.AMDGPU.csdata,"",@progbits
; Kernel info:
; codeLenInByte = 21760
; NumSgprs: 44
; NumVgprs: 149
; NumAgprs: 0
; TotalNumVgprs: 149
; ScratchSize: 0
; MemoryBound: 0
; FloatMode: 240
; IeeeMode: 1
; LDSByteSize: 0 bytes/workgroup (compile time only)
; SGPRBlocks: 5
; VGPRBlocks: 18
; NumSGPRsForWavesPerEU: 44
; NumVGPRsForWavesPerEU: 149
; AccumOffset: 152
; Occupancy: 3
; WaveLimiterHint : 0
; COMPUTE_PGM_RSRC2:SCRATCH_EN: 0
; COMPUTE_PGM_RSRC2:USER_SGPR: 6
; COMPUTE_PGM_RSRC2:TRAP_HANDLER: 0
; COMPUTE_PGM_RSRC2:TGID_X_EN: 1
; COMPUTE_PGM_RSRC2:TGID_Y_EN: 0
; COMPUTE_PGM_RSRC2:TGID_Z_EN: 0
; COMPUTE_PGM_RSRC2:TIDIG_COMP_CNT: 0
; COMPUTE_PGM_RSRC3_GFX90A:ACCUM_OFFSET: 37
; COMPUTE_PGM_RSRC3_GFX90A:TG_SPLIT: 0
	.section	.text._Z30fast_hadamard_transform_kernelI37fast_hadamard_transform_kernel_traitsILi256ELi15E14__hip_bfloat16EEv18HadamardParamsBase,"axG",@progbits,_Z30fast_hadamard_transform_kernelI37fast_hadamard_transform_kernel_traitsILi256ELi15E14__hip_bfloat16EEv18HadamardParamsBase,comdat
	.protected	_Z30fast_hadamard_transform_kernelI37fast_hadamard_transform_kernel_traitsILi256ELi15E14__hip_bfloat16EEv18HadamardParamsBase ; -- Begin function _Z30fast_hadamard_transform_kernelI37fast_hadamard_transform_kernel_traitsILi256ELi15E14__hip_bfloat16EEv18HadamardParamsBase
	.globl	_Z30fast_hadamard_transform_kernelI37fast_hadamard_transform_kernel_traitsILi256ELi15E14__hip_bfloat16EEv18HadamardParamsBase
	.p2align	8
	.type	_Z30fast_hadamard_transform_kernelI37fast_hadamard_transform_kernel_traitsILi256ELi15E14__hip_bfloat16EEv18HadamardParamsBase,@function
_Z30fast_hadamard_transform_kernelI37fast_hadamard_transform_kernel_traitsILi256ELi15E14__hip_bfloat16EEv18HadamardParamsBase: ; @_Z30fast_hadamard_transform_kernelI37fast_hadamard_transform_kernel_traitsILi256ELi15E14__hip_bfloat16EEv18HadamardParamsBase
; %bb.0:
	s_load_dwordx4 s[40:43], s[4:5], 0x10
	s_load_dword s48, s[4:5], 0x4
	s_ashr_i32 s7, s6, 31
	s_load_dwordx4 s[44:47], s[4:5], 0x28
	s_load_dword s2, s[4:5], 0x44
	s_waitcnt lgkmcnt(0)
	s_mul_hi_u32 s0, s40, s6
	s_mul_i32 s1, s40, s7
	s_add_i32 s0, s0, s1
	s_mul_i32 s1, s41, s6
	s_add_i32 s1, s0, s1
	s_mul_i32 s0, s40, s6
	s_lshl_b64 s[0:1], s[0:1], 1
	s_add_u32 s30, s44, s0
	v_lshlrev_b32_e32 v1, 3, v0
	v_lshlrev_b32_e32 v2, 4, v0
	s_addc_u32 s31, s45, s1
	v_cmp_gt_u32_e32 vcc, s48, v1
	v_mov_b32_e32 v1, 0
	v_accvgpr_write_b32 a0, v2
	v_mov_b32_e32 v2, 0
	v_mov_b32_e32 v3, 0
	;; [unrolled: 1-line block ×8, first 2 shown]
	s_and_saveexec_b64 s[0:1], vcc
	s_cbranch_execz .LBB38_2
; %bb.1:
	v_accvgpr_read_b32 v2, a0
	global_load_dwordx4 v[8:11], v2, s[30:31]
	s_waitcnt vmcnt(0)
	v_and_b32_e32 v15, 0xffff0000, v8
	v_lshlrev_b32_e32 v14, 16, v8
	v_and_b32_e32 v8, 0xffff0000, v9
	v_lshlrev_b32_e32 v7, 16, v9
	;; [unrolled: 2-line block ×4, first 2 shown]
.LBB38_2:
	s_or_b64 exec, exec, s[0:1]
	s_and_b32 s40, 0xffff, s2
	v_add_u32_e32 v11, s40, v0
	v_lshlrev_b32_e32 v6, 3, v11
	v_cmp_gt_u32_e64 s[0:1], s48, v6
	v_lshlrev_b32_e32 v6, 4, v11
	v_accvgpr_write_b32 a1, v6
	v_mov_b32_e32 v6, 0
	v_mov_b32_e32 v9, 0
	v_mov_b32_e32 v10, 0
	v_mov_b32_e32 v16, 0
	v_mov_b32_e32 v17, 0
	v_mov_b32_e32 v21, 0
	v_mov_b32_e32 v22, 0
	s_and_saveexec_b64 s[2:3], s[0:1]
	s_cbranch_execz .LBB38_4
; %bb.3:
	v_accvgpr_read_b32 v1, a1
	global_load_dwordx4 v[24:27], v1, s[30:31]
	s_waitcnt vmcnt(0)
	v_and_b32_e32 v22, 0xffff0000, v24
	v_lshlrev_b32_e32 v21, 16, v24
	v_and_b32_e32 v17, 0xffff0000, v25
	v_lshlrev_b32_e32 v16, 16, v25
	v_and_b32_e32 v10, 0xffff0000, v26
	v_lshlrev_b32_e32 v9, 16, v26
	v_and_b32_e32 v6, 0xffff0000, v27
	v_lshlrev_b32_e32 v1, 16, v27
.LBB38_4:
	s_or_b64 exec, exec, s[2:3]
	v_add_u32_e32 v20, s40, v11
	v_lshlrev_b32_e32 v11, 3, v20
	v_lshlrev_b32_e32 v12, 4, v20
	v_cmp_gt_u32_e64 s[2:3], s48, v11
	v_mov_b32_e32 v11, 0
	v_accvgpr_write_b32 a2, v12
	v_mov_b32_e32 v12, 0
	v_mov_b32_e32 v13, 0
	v_mov_b32_e32 v18, 0
	v_mov_b32_e32 v19, 0
	v_mov_b32_e32 v23, 0
	v_mov_b32_e32 v24, 0
	v_mov_b32_e32 v30, 0
	v_mov_b32_e32 v31, 0
	s_and_saveexec_b64 s[8:9], s[2:3]
	s_cbranch_execz .LBB38_6
; %bb.5:
	v_accvgpr_read_b32 v12, a2
	global_load_dwordx4 v[24:27], v12, s[30:31]
	s_waitcnt vmcnt(0)
	v_and_b32_e32 v31, 0xffff0000, v24
	v_lshlrev_b32_e32 v30, 16, v24
	v_and_b32_e32 v24, 0xffff0000, v25
	v_lshlrev_b32_e32 v23, 16, v25
	v_and_b32_e32 v19, 0xffff0000, v26
	v_lshlrev_b32_e32 v18, 16, v26
	v_and_b32_e32 v13, 0xffff0000, v27
	v_lshlrev_b32_e32 v12, 16, v27
.LBB38_6:
	s_or_b64 exec, exec, s[8:9]
	v_add_u32_e32 v27, s40, v20
	v_lshlrev_b32_e32 v20, 3, v27
	v_cmp_gt_u32_e64 s[36:37], s48, v20
	v_lshlrev_b32_e32 v20, 4, v27
	v_accvgpr_write_b32 a3, v20
	v_mov_b32_e32 v20, 0
	v_mov_b32_e32 v25, 0
	v_mov_b32_e32 v26, 0
	v_mov_b32_e32 v32, 0
	v_mov_b32_e32 v33, 0
	v_mov_b32_e32 v37, 0
	v_mov_b32_e32 v38, 0
	s_and_saveexec_b64 s[8:9], s[36:37]
	s_cbranch_execz .LBB38_8
; %bb.7:
	v_accvgpr_read_b32 v11, a3
	global_load_dwordx4 v[40:43], v11, s[30:31]
	s_waitcnt vmcnt(0)
	v_and_b32_e32 v38, 0xffff0000, v40
	v_lshlrev_b32_e32 v37, 16, v40
	v_and_b32_e32 v33, 0xffff0000, v41
	v_lshlrev_b32_e32 v32, 16, v41
	v_and_b32_e32 v26, 0xffff0000, v42
	v_lshlrev_b32_e32 v25, 16, v42
	v_and_b32_e32 v20, 0xffff0000, v43
	v_lshlrev_b32_e32 v11, 16, v43
.LBB38_8:
	s_or_b64 exec, exec, s[8:9]
	v_add_u32_e32 v36, s40, v27
	v_lshlrev_b32_e32 v27, 3, v36
	v_lshlrev_b32_e32 v28, 4, v36
	v_cmp_gt_u32_e64 s[38:39], s48, v27
	v_mov_b32_e32 v27, 0
	v_accvgpr_write_b32 a4, v28
	v_mov_b32_e32 v28, 0
	v_mov_b32_e32 v29, 0
	v_mov_b32_e32 v34, 0
	v_mov_b32_e32 v35, 0
	v_mov_b32_e32 v39, 0
	v_mov_b32_e32 v40, 0
	v_mov_b32_e32 v46, 0
	v_mov_b32_e32 v47, 0
	s_and_saveexec_b64 s[8:9], s[38:39]
	s_cbranch_execz .LBB38_10
; %bb.9:
	v_accvgpr_read_b32 v28, a4
	global_load_dwordx4 v[40:43], v28, s[30:31]
	s_waitcnt vmcnt(0)
	v_and_b32_e32 v47, 0xffff0000, v40
	v_lshlrev_b32_e32 v46, 16, v40
	v_and_b32_e32 v40, 0xffff0000, v41
	v_lshlrev_b32_e32 v39, 16, v41
	v_and_b32_e32 v35, 0xffff0000, v42
	v_lshlrev_b32_e32 v34, 16, v42
	v_and_b32_e32 v29, 0xffff0000, v43
	v_lshlrev_b32_e32 v28, 16, v43
.LBB38_10:
	s_or_b64 exec, exec, s[8:9]
	;; [unrolled: 58-line block ×5, first 2 shown]
	v_add_u32_e32 v91, s40, v84
	v_lshlrev_b32_e32 v84, 3, v91
	v_cmp_gt_u32_e64 s[20:21], s48, v84
	v_lshlrev_b32_e32 v84, 4, v91
	v_accvgpr_write_b32 a11, v84
	v_mov_b32_e32 v84, 0
	v_mov_b32_e32 v89, 0
	v_mov_b32_e32 v90, 0
	v_mov_b32_e32 v96, 0
	v_mov_b32_e32 v97, 0
	v_mov_b32_e32 v100, 0
	v_mov_b32_e32 v101, 0
	s_and_saveexec_b64 s[22:23], s[20:21]
	s_cbranch_execz .LBB38_24
; %bb.23:
	v_accvgpr_read_b32 v75, a11
	global_load_dwordx4 v[102:105], v75, s[30:31]
	s_waitcnt vmcnt(0)
	v_and_b32_e32 v101, 0xffff0000, v102
	v_lshlrev_b32_e32 v100, 16, v102
	v_and_b32_e32 v97, 0xffff0000, v103
	v_lshlrev_b32_e32 v96, 16, v103
	v_and_b32_e32 v90, 0xffff0000, v104
	v_lshlrev_b32_e32 v89, 16, v104
	v_and_b32_e32 v84, 0xffff0000, v105
	v_lshlrev_b32_e32 v75, 16, v105
.LBB38_24:
	s_or_b64 exec, exec, s[22:23]
	v_add_u32_e32 v102, s40, v91
	v_lshlrev_b32_e32 v91, 3, v102
	v_cmp_gt_u32_e64 s[22:23], s48, v91
	v_lshlrev_b32_e32 v91, 4, v102
	v_mov_b32_e32 v93, 0
	v_accvgpr_write_b32 a12, v91
	v_mov_b32_e32 v91, 0
	v_mov_b32_e32 v92, 0
	;; [unrolled: 1-line block ×8, first 2 shown]
	s_and_saveexec_b64 s[24:25], s[22:23]
	s_cbranch_execz .LBB38_26
; %bb.25:
	v_accvgpr_read_b32 v91, a12
	global_load_dwordx4 v[110:113], v91, s[30:31]
	s_waitcnt vmcnt(0)
	v_and_b32_e32 v108, 0xffff0000, v110
	v_lshlrev_b32_e32 v107, 16, v110
	v_and_b32_e32 v104, 0xffff0000, v111
	v_lshlrev_b32_e32 v103, 16, v111
	;; [unrolled: 2-line block ×4, first 2 shown]
.LBB38_26:
	s_or_b64 exec, exec, s[24:25]
	v_add_u32_e32 v114, s40, v102
	v_lshlrev_b32_e32 v102, 3, v114
	v_cmp_gt_u32_e64 s[24:25], s48, v102
	v_mov_b32_e32 v102, 0
	v_mov_b32_e32 v105, 0
	v_mov_b32_e32 v106, 0
	v_mov_b32_e32 v112, 0
	v_mov_b32_e32 v113, 0
	v_mov_b32_e32 v116, 0
	v_mov_b32_e32 v117, 0
	s_and_saveexec_b64 s[28:29], s[24:25]
	s_cbranch_execz .LBB38_28
; %bb.27:
	v_mov_b32_e32 v115, 0
	v_lshlrev_b64 v[110:111], 4, v[114:115]
	v_mov_b32_e32 v93, s31
	v_add_co_u32_e64 v110, s[26:27], s30, v110
	v_addc_co_u32_e64 v111, s[26:27], v93, v111, s[26:27]
	global_load_dwordx4 v[118:121], v[110:111], off
	s_waitcnt vmcnt(0)
	v_and_b32_e32 v117, 0xffff0000, v118
	v_lshlrev_b32_e32 v116, 16, v118
	v_and_b32_e32 v113, 0xffff0000, v119
	v_lshlrev_b32_e32 v112, 16, v119
	;; [unrolled: 2-line block ×4, first 2 shown]
.LBB38_28:
	s_or_b64 exec, exec, s[28:29]
	v_add_u32_e32 v118, s40, v114
	v_lshlrev_b32_e32 v109, 3, v118
	v_accvgpr_write_b32 a14, v114
	v_cmp_gt_u32_e64 s[26:27], s48, v109
	v_mov_b32_e32 v109, 0
	v_mov_b32_e32 v110, 0
	;; [unrolled: 1-line block ×9, first 2 shown]
	s_and_saveexec_b64 s[34:35], s[26:27]
	s_cbranch_execz .LBB38_30
; %bb.29:
	v_mov_b32_e32 v119, 0
	v_lshlrev_b64 v[110:111], 4, v[118:119]
	v_mov_b32_e32 v114, s31
	v_add_co_u32_e64 v110, s[28:29], s30, v110
	v_addc_co_u32_e64 v111, s[28:29], v114, v111, s[28:29]
	global_load_dwordx4 v[126:129], v[110:111], off
	s_waitcnt vmcnt(0)
	v_and_b32_e32 v124, 0xffff0000, v126
	v_lshlrev_b32_e32 v123, 16, v126
	v_and_b32_e32 v120, 0xffff0000, v127
	v_lshlrev_b32_e32 v119, 16, v127
	;; [unrolled: 2-line block ×4, first 2 shown]
.LBB38_30:
	s_or_b64 exec, exec, s[34:35]
	s_load_dword s33, s[4:5], 0x20
	v_accvgpr_write_b32 a16, v118
	v_add_u32_e32 v118, s40, v118
	v_accvgpr_write_b32 a18, v118
	v_lshlrev_b32_e32 v118, 3, v118
	v_cmp_gt_u32_e64 s[28:29], s48, v118
	v_mov_b32_e32 v118, 0
	v_mov_b32_e32 v121, 0
	;; [unrolled: 1-line block ×7, first 2 shown]
	s_and_saveexec_b64 s[34:35], s[28:29]
	s_cbranch_execz .LBB38_32
; %bb.31:
	v_accvgpr_read_b32 v126, a18
	v_mov_b32_e32 v127, 0
	v_lshlrev_b64 v[126:127], 4, v[126:127]
	v_mov_b32_e32 v109, s31
	v_add_co_u32_e64 v126, s[4:5], s30, v126
	v_addc_co_u32_e64 v127, s[4:5], v109, v127, s[4:5]
	global_load_dwordx4 v[130:133], v[126:127], off
	s_waitcnt vmcnt(0)
	v_and_b32_e32 v128, 0xffff0000, v130
	v_lshlrev_b32_e32 v127, 16, v130
	v_and_b32_e32 v126, 0xffff0000, v131
	v_lshlrev_b32_e32 v125, 16, v131
	;; [unrolled: 2-line block ×4, first 2 shown]
.LBB38_32:
	s_or_b64 exec, exec, s[34:35]
	v_add_f32_e32 v129, v14, v15
	v_sub_f32_e32 v14, v14, v15
	v_add_f32_e32 v15, v21, v22
	v_sub_f32_e32 v21, v21, v22
	;; [unrolled: 2-line block ×110, first 2 shown]
	v_add_f32_e32 v102, v111, v115
	v_add_f32_e32 v116, v9, v1
	v_sub_f32_e32 v1, v9, v1
	v_add_f32_e32 v123, v25, v11
	v_sub_f32_e32 v25, v25, v11
	;; [unrolled: 2-line block ×7, first 2 shown]
	v_add_f32_e32 v66, v73, v59
	v_add_f32_e32 v117, v107, v103
	v_sub_f32_e32 v134, v107, v103
	v_add_f32_e32 v112, v4, v2
	v_sub_f32_e32 v2, v4, v2
	;; [unrolled: 2-line block ×15, first 2 shown]
	v_mbcnt_lo_u32_b32 v1, -1, 0
	v_mbcnt_hi_u32_b32 v1, -1, v1
	v_sub_f32_e32 v106, v115, v111
	v_add_f32_e32 v141, v95, v118
	v_sub_f32_e32 v142, v118, v95
	v_add_f32_e32 v95, v58, v79
	;; [unrolled: 2-line block ×6, first 2 shown]
	v_sub_f32_e32 v24, v14, v2
	v_and_b32_e32 v2, 64, v1
	v_add_u32_e32 v2, 64, v2
	v_xor_b32_e32 v15, 1, v1
	v_cmp_lt_i32_e64 s[4:5], v15, v2
	v_cndmask_b32_e64 v15, v1, v15, s[4:5]
	v_lshlrev_b32_e32 v145, 2, v15
	v_add_f32_e32 v148, v5, v22
	v_sub_f32_e32 v149, v22, v5
	v_add_f32_e32 v22, v112, v113
	ds_bpermute_b32 v15, v145, v141
	v_add_f32_e32 v160, v51, v70
	v_sub_f32_e32 v161, v70, v51
	v_add_f32_e32 v67, v34, v46
	v_sub_f32_e32 v70, v46, v34
	;; [unrolled: 2-line block ×3, first 2 shown]
	ds_bpermute_b32 v17, v145, v22
	v_and_b32_e32 v16, 1, v0
	v_sub_f32_e32 v59, v73, v59
	v_add_f32_e32 v73, v82, v76
	v_sub_f32_e32 v76, v82, v76
	v_add_f32_e32 v82, v89, v75
	v_add_f32_e32 v154, v13, v47
	v_sub_f32_e32 v155, v47, v13
	v_add_f32_e32 v158, v42, v63
	v_sub_f32_e32 v159, v63, v42
	;; [unrolled: 2-line block ×3, first 2 shown]
	v_add_f32_e32 v21, v128, v122
	v_cmp_eq_u32_e64 s[30:31], 0, v16
	v_add_f32_e32 v143, v100, v129
	v_sub_f32_e32 v144, v129, v100
	v_add_f32_e32 v163, v73, v85
	v_sub_f32_e32 v100, v85, v73
	v_add_f32_e32 v104, v82, v94
	v_sub_f32_e32 v108, v94, v82
	v_add_f32_e32 v82, v56, v36
	v_sub_f32_e32 v85, v56, v36
	v_add_f32_e32 v36, v23, v18
	v_sub_f32_e32 v40, v23, v18
	v_cndmask_b32_e64 v16, -v141, v141, s[30:31]
	ds_bpermute_b32 v18, v145, v21
	s_waitcnt lgkmcnt(0)
	v_add_f32_e32 v15, v16, v15
	v_cndmask_b32_e64 v16, -v22, v22, s[30:31]
	ds_bpermute_b32 v20, v145, v19
	v_add_f32_e32 v16, v16, v17
	v_cndmask_b32_e64 v17, -v21, v21, s[30:31]
	ds_bpermute_b32 v21, v145, v142
	v_sub_f32_e32 v31, v113, v112
	v_add_f32_e32 v17, v17, v18
	v_cndmask_b32_e64 v18, -v19, v19, s[30:31]
	v_add_f32_e32 v156, v35, v54
	v_sub_f32_e32 v157, v54, v35
	v_add_f32_e32 v51, v123, v30
	v_sub_f32_e32 v54, v30, v123
	v_sub_f32_e32 v30, v128, v122
	s_waitcnt lgkmcnt(1)
	v_add_f32_e32 v18, v18, v20
	ds_bpermute_b32 v20, v145, v31
	v_cndmask_b32_e64 v19, -v142, v142, s[30:31]
	s_waitcnt lgkmcnt(1)
	v_add_f32_e32 v19, v19, v21
	ds_bpermute_b32 v21, v145, v30
	v_cndmask_b32_e64 v22, -v31, v31, s[30:31]
	;; [unrolled: 4-line block ×3, first 2 shown]
	s_waitcnt lgkmcnt(1)
	v_add_f32_e32 v21, v23, v21
	ds_bpermute_b32 v23, v145, v143
	v_sub_f32_e32 v75, v89, v75
	v_add_f32_e32 v89, v98, v91
	v_add_f32_e32 v35, v116, v7
	v_cndmask_b32_e64 v24, -v24, v24, s[30:31]
	v_add_f32_e32 v152, v10, v38
	v_sub_f32_e32 v153, v38, v10
	v_sub_f32_e32 v38, v7, v116
	v_add_f32_e32 v112, v89, v117
	v_sub_f32_e32 v116, v117, v89
	v_add_f32_e32 v34, v8, v125
	v_add_f32_e32 v73, v49, v29
	v_sub_f32_e32 v78, v49, v29
	v_add_f32_e32 v89, v65, v45
	v_sub_f32_e32 v94, v65, v45
	;; [unrolled: 2-line block ×3, first 2 shown]
	s_waitcnt lgkmcnt(1)
	v_add_f32_e32 v22, v24, v22
	ds_bpermute_b32 v24, v145, v35
	v_cndmask_b32_e64 v25, -v143, v143, s[30:31]
	s_waitcnt lgkmcnt(1)
	v_add_f32_e32 v23, v25, v23
	ds_bpermute_b32 v25, v145, v34
	v_sub_f32_e32 v91, v98, v91
	v_add_f32_e32 v98, v105, v93
	v_sub_f32_e32 v93, v105, v93
	v_add_f32_e32 v105, v114, v110
	;; [unrolled: 2-line block ×3, first 2 shown]
	v_add_f32_e32 v13, v105, v136
	v_sub_f32_e32 v10, v136, v105
	v_add_f32_e32 v7, v114, v138
	v_sub_f32_e32 v5, v138, v114
	v_add_f32_e32 v136, v81, v61
	v_sub_f32_e32 v138, v81, v61
	v_add_f32_e32 v61, v48, v27
	v_sub_f32_e32 v65, v48, v27
	v_cndmask_b32_e64 v27, -v35, v35, s[30:31]
	v_add_f32_e32 v120, v98, v124
	v_sub_f32_e32 v123, v124, v98
	v_add_f32_e32 v98, v72, v52
	v_sub_f32_e32 v105, v72, v52
	;; [unrolled: 2-line block ×3, first 2 shown]
	s_waitcnt lgkmcnt(1)
	v_add_f32_e32 v24, v27, v24
	ds_bpermute_b32 v27, v145, v26
	v_cndmask_b32_e64 v28, -v34, v34, s[30:31]
	s_waitcnt lgkmcnt(1)
	v_add_f32_e32 v25, v28, v25
	ds_bpermute_b32 v28, v145, v144
	v_add_f32_e32 v58, v11, v37
	v_sub_f32_e32 v63, v37, v11
	v_sub_f32_e32 v37, v8, v125
	ds_bpermute_b32 v29, v145, v38
	ds_bpermute_b32 v30, v145, v37
	v_cndmask_b32_e64 v26, -v26, v26, s[30:31]
	s_waitcnt lgkmcnt(3)
	v_add_f32_e32 v26, v26, v27
	v_cndmask_b32_e64 v27, -v144, v144, s[30:31]
	s_waitcnt lgkmcnt(2)
	v_add_f32_e32 v27, v27, v28
	v_cndmask_b32_e64 v28, -v38, v38, s[30:31]
	ds_bpermute_b32 v31, v145, v33
	s_waitcnt lgkmcnt(2)
	v_add_f32_e32 v28, v28, v29
	v_cndmask_b32_e64 v29, -v37, v37, s[30:31]
	ds_bpermute_b32 v32, v145, v146
	;; [unrolled: 4-line block ×3, first 2 shown]
	ds_bpermute_b32 v34, v145, v41
	s_waitcnt lgkmcnt(3)
	v_add_f32_e32 v30, v30, v31
	v_cndmask_b32_e64 v31, -v146, v146, s[30:31]
	s_waitcnt lgkmcnt(2)
	v_add_f32_e32 v31, v31, v32
	v_cndmask_b32_e64 v32, -v42, v42, s[30:31]
	ds_bpermute_b32 v35, v145, v36
	s_waitcnt lgkmcnt(2)
	v_add_f32_e32 v32, v32, v33
	v_cndmask_b32_e64 v33, -v41, v41, s[30:31]
	ds_bpermute_b32 v37, v145, v147
	;; [unrolled: 4-line block ×3, first 2 shown]
	s_waitcnt lgkmcnt(2)
	v_add_f32_e32 v34, v34, v35
	v_cndmask_b32_e64 v35, -v147, v147, s[30:31]
	s_waitcnt lgkmcnt(1)
	v_add_f32_e32 v35, v35, v37
	ds_bpermute_b32 v37, v145, v46
	v_cndmask_b32_e64 v38, -v47, v47, s[30:31]
	s_waitcnt lgkmcnt(1)
	v_add_f32_e32 v36, v38, v36
	ds_bpermute_b32 v38, v145, v40
	;; [unrolled: 4-line block ×6, first 2 shown]
	v_add_f32_e32 v113, v97, v77
	v_sub_f32_e32 v117, v97, v77
	v_add_f32_e32 v77, v64, v43
	v_sub_f32_e32 v81, v64, v43
	v_cndmask_b32_e64 v43, -v50, v50, s[30:31]
	v_sub_f32_e32 v140, v121, v109
	v_add_f32_e32 v164, v88, v68
	v_sub_f32_e32 v109, v88, v68
	v_add_f32_e32 v68, v55, v44
	v_sub_f32_e32 v72, v55, v44
	s_waitcnt lgkmcnt(1)
	v_add_f32_e32 v41, v43, v41
	ds_bpermute_b32 v43, v145, v149
	v_cndmask_b32_e64 v44, -v45, v45, s[30:31]
	s_waitcnt lgkmcnt(1)
	v_add_f32_e32 v42, v44, v42
	ds_bpermute_b32 v44, v145, v54
	v_cndmask_b32_e64 v45, -v149, v149, s[30:31]
	;; [unrolled: 4-line block ×15, first 2 shown]
	s_waitcnt lgkmcnt(1)
	v_add_f32_e32 v56, v58, v56
	ds_bpermute_b32 v58, v145, v61
	v_add_f32_e32 v126, v132, v92
	v_sub_f32_e32 v128, v132, v92
	v_add_f32_e32 v92, v80, v59
	v_sub_f32_e32 v97, v80, v59
	v_cndmask_b32_e64 v59, -v66, v66, s[30:31]
	v_add_f32_e32 v121, v131, v84
	v_sub_f32_e32 v124, v131, v84
	v_add_f32_e32 v84, v71, v60
	v_sub_f32_e32 v88, v71, v60
	s_waitcnt lgkmcnt(1)
	v_add_f32_e32 v57, v59, v57
	ds_bpermute_b32 v59, v145, v153
	v_cndmask_b32_e64 v60, -v61, v61, s[30:31]
	s_waitcnt lgkmcnt(1)
	v_add_f32_e32 v58, v60, v58
	ds_bpermute_b32 v60, v145, v70
	v_cndmask_b32_e64 v61, -v153, v153, s[30:31]
	;; [unrolled: 4-line block ×15, first 2 shown]
	s_waitcnt lgkmcnt(1)
	v_add_f32_e32 v72, v74, v72
	ds_bpermute_b32 v74, v145, v77
	v_add_f32_e32 v11, v133, v106
	v_sub_f32_e32 v8, v133, v106
	v_add_f32_e32 v132, v96, v75
	v_sub_f32_e32 v133, v96, v75
	v_cndmask_b32_e64 v75, -v82, v82, s[30:31]
	v_add_f32_e32 v106, v87, v76
	v_sub_f32_e32 v131, v87, v76
	s_waitcnt lgkmcnt(1)
	v_add_f32_e32 v73, v75, v73
	ds_bpermute_b32 v75, v145, v157
	v_cndmask_b32_e64 v76, -v77, v77, s[30:31]
	s_waitcnt lgkmcnt(1)
	v_add_f32_e32 v74, v76, v74
	ds_bpermute_b32 v76, v145, v86
	v_cndmask_b32_e64 v77, -v157, v157, s[30:31]
	;; [unrolled: 4-line block ×15, first 2 shown]
	s_waitcnt lgkmcnt(1)
	v_add_f32_e32 v88, v90, v88
	ds_bpermute_b32 v90, v145, v92
	v_add_f32_e32 v114, v134, v91
	v_sub_f32_e32 v118, v134, v91
	v_cndmask_b32_e64 v91, -v98, v98, s[30:31]
	s_waitcnt lgkmcnt(1)
	v_add_f32_e32 v89, v91, v89
	ds_bpermute_b32 v91, v145, v161
	v_cndmask_b32_e64 v92, -v92, v92, s[30:31]
	s_waitcnt lgkmcnt(1)
	v_add_f32_e32 v90, v92, v90
	ds_bpermute_b32 v92, v145, v162
	v_add_f32_e32 v122, v135, v93
	v_sub_f32_e32 v125, v135, v93
	v_cndmask_b32_e64 v93, -v161, v161, s[30:31]
	s_waitcnt lgkmcnt(1)
	v_add_f32_e32 v91, v93, v91
	ds_bpermute_b32 v93, v145, v105
	v_cndmask_b32_e64 v94, -v162, v162, s[30:31]
	s_waitcnt lgkmcnt(1)
	v_add_f32_e32 v92, v94, v92
	ds_bpermute_b32 v94, v145, v97
	;; [unrolled: 4-line block ×4, first 2 shown]
	ds_bpermute_b32 v98, v145, v136
	ds_bpermute_b32 v101, v145, v106
	v_cndmask_b32_e64 v95, -v95, v95, s[30:31]
	ds_bpermute_b32 v102, v145, v99
	s_waitcnt lgkmcnt(4)
	v_add_f32_e32 v95, v95, v96
	v_cndmask_b32_e64 v96, -v163, v163, s[30:31]
	s_waitcnt lgkmcnt(3)
	v_add_f32_e32 v96, v96, v97
	v_cndmask_b32_e64 v97, -v136, v136, s[30:31]
	;; [unrolled: 3-line block ×3, first 2 shown]
	s_waitcnt lgkmcnt(1)
	v_add_f32_e32 v98, v98, v101
	ds_bpermute_b32 v101, v145, v100
	v_cndmask_b32_e64 v99, -v99, v99, s[30:31]
	s_waitcnt lgkmcnt(1)
	v_add_f32_e32 v99, v99, v102
	ds_bpermute_b32 v102, v145, v138
	ds_bpermute_b32 v105, v145, v131
	ds_bpermute_b32 v106, v145, v103
	v_cndmask_b32_e64 v100, -v100, v100, s[30:31]
	s_waitcnt lgkmcnt(3)
	v_add_f32_e32 v100, v100, v101
	v_cndmask_b32_e64 v101, -v138, v138, s[30:31]
	s_waitcnt lgkmcnt(2)
	v_add_f32_e32 v101, v101, v102
	;; [unrolled: 3-line block ×3, first 2 shown]
	ds_bpermute_b32 v105, v145, v104
	v_cndmask_b32_e64 v103, -v103, v103, s[30:31]
	s_waitcnt lgkmcnt(1)
	v_add_f32_e32 v103, v103, v106
	ds_bpermute_b32 v106, v145, v164
	v_add_f32_e32 v127, v137, v110
	v_sub_f32_e32 v129, v137, v110
	ds_bpermute_b32 v110, v145, v132
	v_cndmask_b32_e64 v104, -v104, v104, s[30:31]
	s_waitcnt lgkmcnt(2)
	v_add_f32_e32 v104, v104, v105
	v_cndmask_b32_e64 v105, -v164, v164, s[30:31]
	ds_bpermute_b32 v131, v145, v107
	s_waitcnt lgkmcnt(2)
	v_add_f32_e32 v105, v105, v106
	v_cndmask_b32_e64 v106, -v132, v132, s[30:31]
	s_waitcnt lgkmcnt(1)
	v_add_f32_e32 v106, v106, v110
	ds_bpermute_b32 v110, v145, v108
	v_cndmask_b32_e64 v107, -v107, v107, s[30:31]
	s_waitcnt lgkmcnt(1)
	v_add_f32_e32 v107, v107, v131
	ds_bpermute_b32 v131, v145, v109
	;; [unrolled: 4-line block ×30, first 2 shown]
	v_add_f32_e32 v130, v139, v140
	v_cndmask_b32_e64 v7, -v7, v7, s[30:31]
	s_waitcnt lgkmcnt(1)
	v_add_f32_e32 v7, v7, v132
	ds_bpermute_b32 v132, v145, v130
	v_cndmask_b32_e64 v11, -v11, v11, s[30:31]
	s_waitcnt lgkmcnt(1)
	v_add_f32_e32 v11, v11, v131
	ds_bpermute_b32 v131, v145, v3
	;; [unrolled: 4-line block ×4, first 2 shown]
	v_cndmask_b32_e64 v5, -v5, v5, s[30:31]
	s_waitcnt lgkmcnt(1)
	v_add_f32_e32 v132, v5, v132
	v_cndmask_b32_e64 v5, -v8, v8, s[30:31]
	v_xor_b32_e32 v8, 2, v1
	v_cmp_lt_i32_e64 s[4:5], v8, v2
	v_sub_f32_e32 v14, v139, v140
	v_cndmask_b32_e64 v8, v1, v8, s[4:5]
	ds_bpermute_b32 v133, v145, v14
	s_waitcnt lgkmcnt(1)
	v_add_f32_e32 v3, v5, v3
	v_cndmask_b32_e64 v5, -v14, v14, s[30:31]
	v_lshlrev_b32_e32 v147, 2, v8
	v_and_b32_e32 v14, 2, v0
	ds_bpermute_b32 v8, v147, v15
	v_cmp_eq_u32_e64 s[34:35], 0, v14
	v_cndmask_b32_e64 v14, -v15, v15, s[34:35]
	ds_bpermute_b32 v15, v147, v17
	s_waitcnt lgkmcnt(2)
	v_add_f32_e32 v5, v5, v133
	ds_bpermute_b32 v133, v147, v16
	s_waitcnt lgkmcnt(2)
	v_add_f32_e32 v8, v14, v8
	v_cndmask_b32_e64 v14, -v16, v16, s[34:35]
	ds_bpermute_b32 v16, v147, v18
	v_cndmask_b32_e64 v17, -v17, v17, s[34:35]
	s_waitcnt lgkmcnt(2)
	v_add_f32_e32 v15, v17, v15
	ds_bpermute_b32 v17, v147, v19
	v_cndmask_b32_e64 v18, -v18, v18, s[34:35]
	s_waitcnt lgkmcnt(1)
	v_add_f32_e32 v16, v18, v16
	;; [unrolled: 4-line block ×107, first 2 shown]
	v_cndmask_b32_e64 v121, -v123, v123, s[34:35]
	ds_bpermute_b32 v123, v147, v125
	v_add_f32_e32 v14, v14, v133
	ds_bpermute_b32 v133, v147, v124
	s_waitcnt lgkmcnt(2)
	v_add_f32_e32 v121, v121, v122
	v_cndmask_b32_e64 v122, -v124, v124, s[34:35]
	ds_bpermute_b32 v124, v147, v9
	v_cndmask_b32_e64 v125, -v125, v125, s[34:35]
	s_waitcnt lgkmcnt(2)
	v_add_f32_e32 v123, v125, v123
	ds_bpermute_b32 v125, v147, v13
	v_cndmask_b32_e64 v9, -v9, v9, s[34:35]
	s_waitcnt lgkmcnt(1)
	v_add_f32_e32 v9, v9, v124
	;; [unrolled: 4-line block ×12, first 2 shown]
	v_cndmask_b32_e64 v128, -v130, v130, s[34:35]
	v_add_f32_e32 v122, v122, v133
	ds_bpermute_b32 v133, v147, v131
	s_waitcnt lgkmcnt(1)
	v_add_f32_e32 v128, v128, v129
	v_cndmask_b32_e64 v129, -v131, v131, s[34:35]
	ds_bpermute_b32 v131, v147, v3
	ds_bpermute_b32 v130, v147, v132
	v_cndmask_b32_e64 v3, -v3, v3, s[34:35]
	s_waitcnt lgkmcnt(2)
	v_add_f32_e32 v129, v129, v133
	ds_bpermute_b32 v133, v147, v5
	s_waitcnt lgkmcnt(2)
	v_add_f32_e32 v3, v3, v131
	v_xor_b32_e32 v131, 4, v1
	v_cmp_lt_i32_e64 s[4:5], v131, v2
	v_cndmask_b32_e64 v131, v1, v131, s[4:5]
	v_cndmask_b32_e64 v132, -v132, v132, s[34:35]
	v_lshlrev_b32_e32 v131, 2, v131
	s_waitcnt lgkmcnt(1)
	v_add_f32_e32 v130, v132, v130
	ds_bpermute_b32 v132, v131, v8
	v_cndmask_b32_e64 v5, -v5, v5, s[34:35]
	s_waitcnt lgkmcnt(1)
	v_add_f32_e32 v5, v5, v133
	v_and_b32_e32 v133, 4, v0
	v_cmp_eq_u32_e64 s[4:5], 0, v133
	v_cndmask_b32_e64 v8, -v8, v8, s[4:5]
	s_waitcnt lgkmcnt(0)
	v_add_f32_e32 v8, v8, v132
	ds_bpermute_b32 v132, v131, v15
	v_cndmask_b32_e64 v15, -v15, v15, s[4:5]
	ds_bpermute_b32 v133, v131, v16
	v_cndmask_b32_e64 v16, -v16, v16, s[4:5]
	ds_bpermute_b32 v134, v131, v14
	s_waitcnt lgkmcnt(2)
	v_add_f32_e32 v15, v15, v132
	ds_bpermute_b32 v132, v131, v17
	v_cndmask_b32_e64 v17, -v17, v17, s[4:5]
	s_waitcnt lgkmcnt(2)
	v_add_f32_e32 v16, v16, v133
	ds_bpermute_b32 v133, v131, v18
	v_cndmask_b32_e64 v18, -v18, v18, s[4:5]
	;; [unrolled: 4-line block ×122, first 2 shown]
	s_waitcnt lgkmcnt(1)
	v_add_f32_e32 v129, v129, v132
	ds_bpermute_b32 v132, v131, v3
	ds_bpermute_b32 v131, v131, v5
	v_cndmask_b32_e64 v5, -v5, v5, s[4:5]
	v_cndmask_b32_e64 v130, -v130, v130, s[4:5]
	;; [unrolled: 1-line block ×3, first 2 shown]
	s_waitcnt lgkmcnt(1)
	v_add_f32_e32 v3, v3, v132
	s_waitcnt lgkmcnt(0)
	v_add_f32_e32 v5, v5, v131
	v_xor_b32_e32 v131, 8, v1
	v_cmp_lt_i32_e64 s[4:5], v131, v2
	v_cndmask_b32_e64 v131, v1, v131, s[4:5]
	v_lshlrev_b32_e32 v131, 2, v131
	ds_bpermute_b32 v132, v131, v8
	v_add_f32_e32 v130, v130, v133
	v_and_b32_e32 v133, 8, v0
	v_cmp_eq_u32_e64 s[4:5], 0, v133
	v_cndmask_b32_e64 v8, -v8, v8, s[4:5]
	s_waitcnt lgkmcnt(0)
	v_add_f32_e32 v8, v8, v132
	ds_bpermute_b32 v132, v131, v15
	v_cndmask_b32_e64 v15, -v15, v15, s[4:5]
	ds_bpermute_b32 v133, v131, v16
	v_cndmask_b32_e64 v16, -v16, v16, s[4:5]
	v_add_f32_e32 v14, v14, v134
	s_waitcnt lgkmcnt(1)
	v_add_f32_e32 v15, v15, v132
	ds_bpermute_b32 v132, v131, v17
	v_cndmask_b32_e64 v17, -v17, v17, s[4:5]
	s_waitcnt lgkmcnt(1)
	v_add_f32_e32 v16, v16, v133
	ds_bpermute_b32 v133, v131, v18
	v_cndmask_b32_e64 v18, -v18, v18, s[4:5]
	;; [unrolled: 4-line block ×121, first 2 shown]
	ds_bpermute_b32 v134, v131, v14
	v_cndmask_b32_e64 v14, -v14, v14, s[4:5]
	s_waitcnt lgkmcnt(2)
	v_add_f32_e32 v128, v128, v133
	s_waitcnt lgkmcnt(1)
	v_add_f32_e32 v172, v129, v132
	ds_bpermute_b32 v129, v131, v3
	v_cndmask_b32_e64 v3, -v3, v3, s[4:5]
	ds_bpermute_b32 v133, v131, v130
	v_cndmask_b32_e64 v130, -v130, v130, s[4:5]
	ds_bpermute_b32 v131, v131, v5
	s_waitcnt lgkmcnt(2)
	v_add_f32_e32 v3, v3, v129
	v_xor_b32_e32 v129, 16, v1
	v_cndmask_b32_e64 v5, -v5, v5, s[4:5]
	v_cmp_lt_i32_e64 s[4:5], v129, v2
	v_cndmask_b32_e64 v129, v1, v129, s[4:5]
	v_lshlrev_b32_e32 v175, 2, v129
	ds_bpermute_b32 v129, v175, v8
	s_waitcnt lgkmcnt(2)
	v_add_f32_e32 v173, v130, v133
	v_and_b32_e32 v130, 16, v0
	v_cmp_eq_u32_e64 s[4:5], 0, v130
	v_cndmask_b32_e64 v8, -v8, v8, s[4:5]
	s_waitcnt lgkmcnt(0)
	v_add_f32_e32 v8, v8, v129
	ds_bpermute_b32 v129, v175, v15
	ds_bpermute_b32 v130, v175, v16
	v_cndmask_b32_e64 v15, -v15, v15, s[4:5]
	v_cndmask_b32_e64 v16, -v16, v16, s[4:5]
	v_add_f32_e32 v14, v14, v134
	s_waitcnt lgkmcnt(1)
	v_add_f32_e32 v15, v15, v129
	ds_bpermute_b32 v129, v175, v17
	s_waitcnt lgkmcnt(1)
	v_add_f32_e32 v16, v16, v130
	ds_bpermute_b32 v130, v175, v18
	v_cndmask_b32_e64 v17, -v17, v17, s[4:5]
	v_cndmask_b32_e64 v18, -v18, v18, s[4:5]
	s_waitcnt lgkmcnt(1)
	v_add_f32_e32 v17, v17, v129
	ds_bpermute_b32 v129, v175, v19
	s_waitcnt lgkmcnt(1)
	v_add_f32_e32 v18, v18, v130
	ds_bpermute_b32 v130, v175, v20
	v_cndmask_b32_e64 v19, -v19, v19, s[4:5]
	v_cndmask_b32_e64 v20, -v20, v20, s[4:5]
	s_waitcnt lgkmcnt(1)
	v_add_f32_e32 v19, v19, v129
	ds_bpermute_b32 v129, v175, v21
	s_waitcnt lgkmcnt(1)
	v_add_f32_e32 v20, v20, v130
	ds_bpermute_b32 v130, v175, v22
	v_cndmask_b32_e64 v21, -v21, v21, s[4:5]
	v_cndmask_b32_e64 v22, -v22, v22, s[4:5]
	s_waitcnt lgkmcnt(1)
	v_add_f32_e32 v21, v21, v129
	ds_bpermute_b32 v129, v175, v23
	s_waitcnt lgkmcnt(1)
	v_add_f32_e32 v22, v22, v130
	ds_bpermute_b32 v130, v175, v24
	v_cndmask_b32_e64 v23, -v23, v23, s[4:5]
	v_cndmask_b32_e64 v24, -v24, v24, s[4:5]
	s_waitcnt lgkmcnt(1)
	v_add_f32_e32 v23, v23, v129
	ds_bpermute_b32 v129, v175, v25
	s_waitcnt lgkmcnt(1)
	v_add_f32_e32 v24, v24, v130
	ds_bpermute_b32 v130, v175, v26
	v_cndmask_b32_e64 v25, -v25, v25, s[4:5]
	v_cndmask_b32_e64 v26, -v26, v26, s[4:5]
	s_waitcnt lgkmcnt(1)
	v_add_f32_e32 v25, v25, v129
	ds_bpermute_b32 v129, v175, v27
	s_waitcnt lgkmcnt(1)
	v_add_f32_e32 v26, v26, v130
	ds_bpermute_b32 v130, v175, v28
	v_cndmask_b32_e64 v27, -v27, v27, s[4:5]
	v_cndmask_b32_e64 v28, -v28, v28, s[4:5]
	s_waitcnt lgkmcnt(1)
	v_add_f32_e32 v27, v27, v129
	ds_bpermute_b32 v129, v175, v29
	s_waitcnt lgkmcnt(1)
	v_add_f32_e32 v28, v28, v130
	ds_bpermute_b32 v130, v175, v30
	v_cndmask_b32_e64 v29, -v29, v29, s[4:5]
	v_cndmask_b32_e64 v30, -v30, v30, s[4:5]
	s_waitcnt lgkmcnt(1)
	v_add_f32_e32 v29, v29, v129
	ds_bpermute_b32 v129, v175, v31
	s_waitcnt lgkmcnt(1)
	v_add_f32_e32 v30, v30, v130
	ds_bpermute_b32 v130, v175, v32
	v_cndmask_b32_e64 v31, -v31, v31, s[4:5]
	v_cndmask_b32_e64 v32, -v32, v32, s[4:5]
	s_waitcnt lgkmcnt(1)
	v_add_f32_e32 v31, v31, v129
	ds_bpermute_b32 v129, v175, v33
	s_waitcnt lgkmcnt(1)
	v_add_f32_e32 v32, v32, v130
	ds_bpermute_b32 v130, v175, v34
	v_cndmask_b32_e64 v33, -v33, v33, s[4:5]
	v_cndmask_b32_e64 v34, -v34, v34, s[4:5]
	s_waitcnt lgkmcnt(1)
	v_add_f32_e32 v33, v33, v129
	ds_bpermute_b32 v129, v175, v35
	s_waitcnt lgkmcnt(1)
	v_add_f32_e32 v34, v34, v130
	ds_bpermute_b32 v130, v175, v36
	v_cndmask_b32_e64 v35, -v35, v35, s[4:5]
	v_cndmask_b32_e64 v36, -v36, v36, s[4:5]
	s_waitcnt lgkmcnt(1)
	v_add_f32_e32 v35, v35, v129
	ds_bpermute_b32 v129, v175, v37
	s_waitcnt lgkmcnt(1)
	v_add_f32_e32 v36, v36, v130
	ds_bpermute_b32 v130, v175, v38
	v_cndmask_b32_e64 v37, -v37, v37, s[4:5]
	v_cndmask_b32_e64 v38, -v38, v38, s[4:5]
	s_waitcnt lgkmcnt(1)
	v_add_f32_e32 v37, v37, v129
	ds_bpermute_b32 v129, v175, v39
	s_waitcnt lgkmcnt(1)
	v_add_f32_e32 v38, v38, v130
	ds_bpermute_b32 v130, v175, v40
	v_cndmask_b32_e64 v39, -v39, v39, s[4:5]
	v_cndmask_b32_e64 v40, -v40, v40, s[4:5]
	s_waitcnt lgkmcnt(1)
	v_add_f32_e32 v39, v39, v129
	ds_bpermute_b32 v129, v175, v41
	s_waitcnt lgkmcnt(1)
	v_add_f32_e32 v40, v40, v130
	ds_bpermute_b32 v130, v175, v42
	v_cndmask_b32_e64 v41, -v41, v41, s[4:5]
	v_cndmask_b32_e64 v42, -v42, v42, s[4:5]
	s_waitcnt lgkmcnt(1)
	v_add_f32_e32 v41, v41, v129
	ds_bpermute_b32 v129, v175, v43
	s_waitcnt lgkmcnt(1)
	v_add_f32_e32 v42, v42, v130
	ds_bpermute_b32 v130, v175, v44
	v_cndmask_b32_e64 v43, -v43, v43, s[4:5]
	v_cndmask_b32_e64 v44, -v44, v44, s[4:5]
	s_waitcnt lgkmcnt(1)
	v_add_f32_e32 v43, v43, v129
	ds_bpermute_b32 v129, v175, v45
	s_waitcnt lgkmcnt(1)
	v_add_f32_e32 v44, v44, v130
	ds_bpermute_b32 v130, v175, v46
	v_cndmask_b32_e64 v45, -v45, v45, s[4:5]
	v_cndmask_b32_e64 v46, -v46, v46, s[4:5]
	s_waitcnt lgkmcnt(1)
	v_add_f32_e32 v45, v45, v129
	ds_bpermute_b32 v129, v175, v47
	s_waitcnt lgkmcnt(1)
	v_add_f32_e32 v46, v46, v130
	ds_bpermute_b32 v130, v175, v48
	v_cndmask_b32_e64 v47, -v47, v47, s[4:5]
	v_cndmask_b32_e64 v48, -v48, v48, s[4:5]
	s_waitcnt lgkmcnt(1)
	v_add_f32_e32 v47, v47, v129
	ds_bpermute_b32 v129, v175, v49
	s_waitcnt lgkmcnt(1)
	v_add_f32_e32 v48, v48, v130
	ds_bpermute_b32 v130, v175, v50
	v_cndmask_b32_e64 v49, -v49, v49, s[4:5]
	v_cndmask_b32_e64 v50, -v50, v50, s[4:5]
	s_waitcnt lgkmcnt(1)
	v_add_f32_e32 v49, v49, v129
	ds_bpermute_b32 v129, v175, v51
	s_waitcnt lgkmcnt(1)
	v_add_f32_e32 v50, v50, v130
	ds_bpermute_b32 v130, v175, v52
	v_cndmask_b32_e64 v51, -v51, v51, s[4:5]
	v_cndmask_b32_e64 v52, -v52, v52, s[4:5]
	s_waitcnt lgkmcnt(1)
	v_add_f32_e32 v51, v51, v129
	ds_bpermute_b32 v129, v175, v53
	s_waitcnt lgkmcnt(1)
	v_add_f32_e32 v52, v52, v130
	ds_bpermute_b32 v130, v175, v54
	v_cndmask_b32_e64 v53, -v53, v53, s[4:5]
	v_cndmask_b32_e64 v54, -v54, v54, s[4:5]
	s_waitcnt lgkmcnt(1)
	v_add_f32_e32 v53, v53, v129
	ds_bpermute_b32 v129, v175, v55
	s_waitcnt lgkmcnt(1)
	v_add_f32_e32 v54, v54, v130
	ds_bpermute_b32 v130, v175, v56
	v_cndmask_b32_e64 v55, -v55, v55, s[4:5]
	v_cndmask_b32_e64 v56, -v56, v56, s[4:5]
	s_waitcnt lgkmcnt(1)
	v_add_f32_e32 v55, v55, v129
	ds_bpermute_b32 v129, v175, v57
	s_waitcnt lgkmcnt(1)
	v_add_f32_e32 v56, v56, v130
	ds_bpermute_b32 v130, v175, v58
	v_cndmask_b32_e64 v57, -v57, v57, s[4:5]
	v_cndmask_b32_e64 v58, -v58, v58, s[4:5]
	s_waitcnt lgkmcnt(1)
	v_add_f32_e32 v57, v57, v129
	ds_bpermute_b32 v129, v175, v59
	s_waitcnt lgkmcnt(1)
	v_add_f32_e32 v58, v58, v130
	ds_bpermute_b32 v130, v175, v60
	v_cndmask_b32_e64 v59, -v59, v59, s[4:5]
	v_cndmask_b32_e64 v60, -v60, v60, s[4:5]
	s_waitcnt lgkmcnt(1)
	v_add_f32_e32 v59, v59, v129
	ds_bpermute_b32 v129, v175, v61
	s_waitcnt lgkmcnt(1)
	v_add_f32_e32 v60, v60, v130
	ds_bpermute_b32 v130, v175, v62
	v_cndmask_b32_e64 v61, -v61, v61, s[4:5]
	v_cndmask_b32_e64 v62, -v62, v62, s[4:5]
	s_waitcnt lgkmcnt(1)
	v_add_f32_e32 v61, v61, v129
	ds_bpermute_b32 v129, v175, v63
	s_waitcnt lgkmcnt(1)
	v_add_f32_e32 v62, v62, v130
	ds_bpermute_b32 v130, v175, v64
	v_cndmask_b32_e64 v63, -v63, v63, s[4:5]
	v_cndmask_b32_e64 v64, -v64, v64, s[4:5]
	s_waitcnt lgkmcnt(1)
	v_add_f32_e32 v63, v63, v129
	ds_bpermute_b32 v129, v175, v65
	s_waitcnt lgkmcnt(1)
	v_add_f32_e32 v64, v64, v130
	ds_bpermute_b32 v130, v175, v66
	v_cndmask_b32_e64 v65, -v65, v65, s[4:5]
	v_cndmask_b32_e64 v66, -v66, v66, s[4:5]
	s_waitcnt lgkmcnt(1)
	v_add_f32_e32 v65, v65, v129
	ds_bpermute_b32 v129, v175, v67
	s_waitcnt lgkmcnt(1)
	v_add_f32_e32 v66, v66, v130
	ds_bpermute_b32 v130, v175, v68
	v_cndmask_b32_e64 v67, -v67, v67, s[4:5]
	v_cndmask_b32_e64 v68, -v68, v68, s[4:5]
	s_waitcnt lgkmcnt(1)
	v_add_f32_e32 v67, v67, v129
	ds_bpermute_b32 v129, v175, v69
	s_waitcnt lgkmcnt(1)
	v_add_f32_e32 v68, v68, v130
	ds_bpermute_b32 v130, v175, v70
	v_cndmask_b32_e64 v69, -v69, v69, s[4:5]
	v_cndmask_b32_e64 v70, -v70, v70, s[4:5]
	s_waitcnt lgkmcnt(1)
	v_add_f32_e32 v69, v69, v129
	ds_bpermute_b32 v129, v175, v71
	s_waitcnt lgkmcnt(1)
	v_add_f32_e32 v70, v70, v130
	ds_bpermute_b32 v130, v175, v72
	v_cndmask_b32_e64 v71, -v71, v71, s[4:5]
	v_cndmask_b32_e64 v72, -v72, v72, s[4:5]
	s_waitcnt lgkmcnt(1)
	v_add_f32_e32 v71, v71, v129
	ds_bpermute_b32 v129, v175, v73
	s_waitcnt lgkmcnt(1)
	v_add_f32_e32 v72, v72, v130
	ds_bpermute_b32 v130, v175, v74
	v_cndmask_b32_e64 v73, -v73, v73, s[4:5]
	v_cndmask_b32_e64 v74, -v74, v74, s[4:5]
	s_waitcnt lgkmcnt(1)
	v_add_f32_e32 v73, v73, v129
	ds_bpermute_b32 v129, v175, v75
	s_waitcnt lgkmcnt(1)
	v_add_f32_e32 v74, v74, v130
	ds_bpermute_b32 v130, v175, v76
	v_cndmask_b32_e64 v75, -v75, v75, s[4:5]
	v_cndmask_b32_e64 v76, -v76, v76, s[4:5]
	s_waitcnt lgkmcnt(1)
	v_add_f32_e32 v75, v75, v129
	ds_bpermute_b32 v129, v175, v77
	s_waitcnt lgkmcnt(1)
	v_add_f32_e32 v76, v76, v130
	ds_bpermute_b32 v130, v175, v78
	v_cndmask_b32_e64 v77, -v77, v77, s[4:5]
	v_cndmask_b32_e64 v78, -v78, v78, s[4:5]
	s_waitcnt lgkmcnt(1)
	v_add_f32_e32 v77, v77, v129
	ds_bpermute_b32 v129, v175, v79
	s_waitcnt lgkmcnt(1)
	v_add_f32_e32 v78, v78, v130
	ds_bpermute_b32 v130, v175, v80
	v_cndmask_b32_e64 v79, -v79, v79, s[4:5]
	v_cndmask_b32_e64 v80, -v80, v80, s[4:5]
	s_waitcnt lgkmcnt(1)
	v_add_f32_e32 v79, v79, v129
	ds_bpermute_b32 v129, v175, v81
	s_waitcnt lgkmcnt(1)
	v_add_f32_e32 v80, v80, v130
	ds_bpermute_b32 v130, v175, v82
	v_add_f32_e32 v5, v5, v131
	ds_bpermute_b32 v131, v175, v14
	v_cndmask_b32_e64 v81, -v81, v81, s[4:5]
	v_cndmask_b32_e64 v82, -v82, v82, s[4:5]
	;; [unrolled: 1-line block ×3, first 2 shown]
	s_waitcnt lgkmcnt(2)
	v_add_f32_e32 v81, v81, v129
	ds_bpermute_b32 v129, v175, v83
	s_waitcnt lgkmcnt(2)
	v_add_f32_e32 v82, v82, v130
	ds_bpermute_b32 v130, v175, v84
	;; [unrolled: 3-line block ×3, first 2 shown]
	v_cndmask_b32_e64 v83, -v83, v83, s[4:5]
	v_cndmask_b32_e64 v84, -v84, v84, s[4:5]
	s_waitcnt lgkmcnt(2)
	v_add_f32_e32 v83, v83, v129
	s_waitcnt lgkmcnt(1)
	v_add_f32_e32 v129, v84, v130
	ds_bpermute_b32 v84, v175, v86
	v_cndmask_b32_e64 v85, -v85, v85, s[4:5]
	s_waitcnt lgkmcnt(1)
	v_add_f32_e32 v130, v85, v131
	ds_bpermute_b32 v85, v175, v87
	v_cndmask_b32_e64 v86, -v86, v86, s[4:5]
	;; [unrolled: 4-line block ×52, first 2 shown]
	s_waitcnt lgkmcnt(1)
	v_add_f32_e32 v171, v7, v6
	v_cndmask_b32_e64 v6, -v172, v172, s[4:5]
	ds_bpermute_b32 v9, v175, v5
	s_waitcnt lgkmcnt(1)
	v_add_f32_e32 v174, v6, v4
	ds_bpermute_b32 v4, v175, v3
	v_cndmask_b32_e64 v3, -v3, v3, s[4:5]
	ds_bpermute_b32 v7, v175, v173
	v_cndmask_b32_e64 v6, -v173, v173, s[4:5]
	s_waitcnt lgkmcnt(0)
	v_add_f32_e32 v172, v3, v4
	v_cndmask_b32_e64 v3, -v5, v5, s[4:5]
	v_add_f32_e32 v173, v3, v9
	v_xor_b32_e32 v3, 32, v1
	v_cmp_lt_i32_e64 s[4:5], v3, v2
	v_cndmask_b32_e64 v1, v1, v3, s[4:5]
	v_lshlrev_b32_e32 v1, 2, v1
	ds_bpermute_b32 v2, v1, v8
	ds_bpermute_b32 v4, v1, v14
	v_and_b32_e32 v3, 32, v0
	ds_bpermute_b32 v5, v1, v15
	v_add_f32_e32 v175, v6, v7
	v_cmp_eq_u32_e64 s[4:5], 0, v3
	ds_bpermute_b32 v6, v1, v16
	v_cndmask_b32_e64 v3, -v8, v8, s[4:5]
	ds_bpermute_b32 v7, v1, v17
	s_waitcnt lgkmcnt(4)
	v_add_f32_e32 v2, v3, v2
	v_cndmask_b32_e64 v3, -v14, v14, s[4:5]
	ds_bpermute_b32 v8, v1, v18
	s_waitcnt lgkmcnt(4)
	v_add_f32_e32 v3, v3, v4
	;; [unrolled: 4-line block ×65, first 2 shown]
	v_cndmask_b32_e64 v67, -v78, v78, s[4:5]
	s_waitcnt lgkmcnt(3)
	v_add_f32_e32 v67, v67, v68
	v_cndmask_b32_e64 v68, -v79, v79, s[4:5]
	s_waitcnt lgkmcnt(2)
	v_add_f32_e32 v68, v68, v69
	;; [unrolled: 3-line block ×3, first 2 shown]
	ds_bpermute_b32 v70, v1, v82
	v_cndmask_b32_e64 v72, -v81, v81, s[4:5]
	s_waitcnt lgkmcnt(1)
	v_add_f32_e32 v84, v72, v71
	ds_bpermute_b32 v71, v1, v83
	v_cndmask_b32_e64 v72, -v82, v82, s[4:5]
	s_waitcnt lgkmcnt(1)
	v_add_f32_e32 v85, v72, v70
	;; [unrolled: 4-line block ×56, first 2 shown]
	v_cndmask_b32_e64 v70, -v174, v174, s[4:5]
	ds_bpermute_b32 v72, v1, v175
	s_waitcnt lgkmcnt(1)
	v_add_f32_e32 v158, v70, v71
	ds_bpermute_b32 v70, v1, v172
	ds_bpermute_b32 v1, v1, v173
	v_cndmask_b32_e64 v71, -v175, v175, s[4:5]
	s_waitcnt lgkmcnt(2)
	v_add_f32_e32 v159, v71, v72
	v_cndmask_b32_e64 v71, -v172, v172, s[4:5]
	s_waitcnt lgkmcnt(1)
	v_add_f32_e32 v160, v71, v70
	v_cndmask_b32_e64 v70, -v173, v173, s[4:5]
	s_waitcnt lgkmcnt(0)
	v_add_f32_e32 v161, v70, v1
	v_lshrrev_b32_e32 v1, 6, v0
	v_and_b32_e32 v70, 3, v0
	v_lshrrev_b32_e32 v71, 2, v0
	v_xor_b32_e32 v0, v1, v0
	v_lshl_add_u32 v149, v0, 4, 0
	v_lshl_or_b32 v0, v70, 6, v71
	v_xor_b32_e32 v0, v0, v70
	v_lshl_add_u32 v193, v0, 4, 0
	s_barrier
	ds_write_b128 v149, v[2:5]
	ds_write_b128 v149, v[6:9] offset:4096
	ds_write_b128 v149, v[10:13] offset:8192
	ds_write_b128 v149, v[14:17] offset:12288
	ds_write_b128 v149, v[18:21] offset:16384
	ds_write_b128 v149, v[22:25] offset:20480
	ds_write_b128 v149, v[26:29] offset:24576
	ds_write_b128 v149, v[30:33] offset:28672
	s_waitcnt lgkmcnt(0)
	s_barrier
	ds_read_b128 v[20:23], v193
	ds_read_b128 v[24:27], v193 offset:4096
	ds_read_b128 v[28:31], v193 offset:8192
	ds_read_b128 v[162:165], v193 offset:12288
	ds_read_b128 v[16:19], v193 offset:16384
	ds_read_b128 v[8:11], v193 offset:20480
	ds_read_b128 v[4:7], v193 offset:24576
	ds_read_b128 v[0:3], v193 offset:28672
	s_waitcnt lgkmcnt(0)
	s_barrier
	ds_write_b128 v149, v[34:37]
	ds_write_b128 v149, v[38:41] offset:4096
	ds_write_b128 v149, v[42:45] offset:8192
	ds_write_b128 v149, v[46:49] offset:12288
	ds_write_b128 v149, v[50:53] offset:16384
	ds_write_b128 v149, v[54:57] offset:20480
	ds_write_b128 v149, v[58:61] offset:24576
	ds_write_b128 v149, v[62:65] offset:28672
	s_waitcnt lgkmcnt(0)
	s_barrier
	ds_read_b128 v[12:15], v193
	ds_read_b128 v[88:91], v193 offset:4096
	ds_read_b128 v[80:83], v193 offset:8192
	ds_read_b128 v[76:79], v193 offset:12288
	ds_read_b128 v[72:75], v193 offset:16384
	ds_read_b128 v[44:47], v193 offset:20480
	ds_read_b128 v[40:43], v193 offset:24576
	ds_read_b128 v[36:39], v193 offset:28672
	s_waitcnt lgkmcnt(0)
	;; [unrolled: 20-line block ×3, first 2 shown]
	s_barrier
	ds_write_b128 v149, v[124:127]
	ds_write_b128 v149, v[128:131] offset:4096
	ds_write_b128 v149, v[132:135] offset:8192
	;; [unrolled: 1-line block ×7, first 2 shown]
	ds_bpermute_b32 v124, v145, v20
	ds_bpermute_b32 v125, v145, v21
	v_cndmask_b32_e64 v20, -v20, v20, s[30:31]
	v_cndmask_b32_e64 v21, -v21, v21, s[30:31]
	ds_bpermute_b32 v142, v145, v88
	s_waitcnt lgkmcnt(2)
	v_add_f32_e32 v20, v20, v124
	ds_bpermute_b32 v124, v145, v22
	s_waitcnt lgkmcnt(2)
	v_add_f32_e32 v21, v21, v125
	ds_bpermute_b32 v125, v145, v23
	v_cndmask_b32_e64 v22, -v22, v22, s[30:31]
	v_cndmask_b32_e64 v23, -v23, v23, s[30:31]
	s_waitcnt lgkmcnt(1)
	v_add_f32_e32 v22, v22, v124
	ds_bpermute_b32 v124, v145, v24
	s_waitcnt lgkmcnt(1)
	v_add_f32_e32 v23, v23, v125
	ds_bpermute_b32 v125, v145, v25
	v_cndmask_b32_e64 v24, -v24, v24, s[30:31]
	v_cndmask_b32_e64 v25, -v25, v25, s[30:31]
	;; [unrolled: 8-line block ×4, first 2 shown]
	s_waitcnt lgkmcnt(1)
	v_add_f32_e32 v144, v28, v124
	ds_bpermute_b32 v28, v145, v30
	s_waitcnt lgkmcnt(1)
	v_add_f32_e32 v146, v29, v125
	ds_bpermute_b32 v29, v145, v31
	v_cndmask_b32_e64 v30, -v30, v30, s[30:31]
	ds_bpermute_b32 v143, v145, v89
	s_waitcnt lgkmcnt(2)
	v_add_f32_e32 v148, v30, v28
	ds_bpermute_b32 v28, v145, v162
	v_cndmask_b32_e64 v30, -v31, v31, s[30:31]
	s_waitcnt lgkmcnt(2)
	v_add_f32_e32 v152, v30, v29
	ds_bpermute_b32 v29, v145, v163
	v_cndmask_b32_e64 v30, -v162, v162, s[30:31]
	;; [unrolled: 4-line block ×17, first 2 shown]
	s_waitcnt lgkmcnt(1)
	v_add_f32_e32 v168, v6, v5
	v_cndmask_b32_e64 v0, -v0, v0, s[30:31]
	ds_bpermute_b32 v5, v145, v1
	s_waitcnt lgkmcnt(1)
	v_add_f32_e32 v169, v0, v4
	ds_bpermute_b32 v0, v145, v2
	ds_bpermute_b32 v4, v145, v3
	v_cndmask_b32_e64 v1, -v1, v1, s[30:31]
	s_waitcnt lgkmcnt(2)
	v_add_f32_e32 v170, v1, v5
	v_cndmask_b32_e64 v1, -v2, v2, s[30:31]
	s_waitcnt lgkmcnt(1)
	v_add_f32_e32 v171, v1, v0
	;; [unrolled: 3-line block ×3, first 2 shown]
	ds_bpermute_b32 v0, v147, v20
	ds_bpermute_b32 v1, v147, v21
	v_cndmask_b32_e64 v2, -v20, v20, s[34:35]
	v_cndmask_b32_e64 v3, -v21, v21, s[34:35]
	;; [unrolled: 1-line block ×3, first 2 shown]
	s_waitcnt lgkmcnt(1)
	v_add_f32_e32 v0, v2, v0
	ds_bpermute_b32 v2, v147, v22
	s_waitcnt lgkmcnt(1)
	v_add_f32_e32 v1, v3, v1
	ds_bpermute_b32 v3, v147, v23
	v_cndmask_b32_e64 v5, -v23, v23, s[34:35]
	v_cndmask_b32_e64 v6, -v24, v24, s[34:35]
	s_waitcnt lgkmcnt(1)
	v_add_f32_e32 v2, v4, v2
	ds_bpermute_b32 v4, v147, v24
	s_waitcnt lgkmcnt(1)
	v_add_f32_e32 v3, v5, v3
	ds_bpermute_b32 v5, v147, v25
	v_cndmask_b32_e64 v7, -v25, v25, s[34:35]
	v_cndmask_b32_e64 v8, -v26, v26, s[34:35]
	;; [unrolled: 8-line block ×9, first 2 shown]
	s_waitcnt lgkmcnt(1)
	v_add_f32_e32 v22, v24, v22
	ds_bpermute_b32 v24, v147, v161
	s_waitcnt lgkmcnt(1)
	v_add_f32_e32 v23, v25, v23
	ds_bpermute_b32 v25, v147, v162
	ds_bpermute_b32 v144, v147, v164
	;; [unrolled: 1-line block ×3, first 2 shown]
	s_waitcnt lgkmcnt(3)
	v_add_f32_e32 v24, v26, v24
	ds_bpermute_b32 v26, v147, v163
	v_cndmask_b32_e64 v27, -v162, v162, s[34:35]
	ds_bpermute_b32 v148, v147, v166
	s_waitcnt lgkmcnt(4)
	v_add_f32_e32 v25, v27, v25
	v_cndmask_b32_e64 v27, -v163, v163, s[34:35]
	s_waitcnt lgkmcnt(1)
	v_add_f32_e32 v26, v27, v26
	v_cndmask_b32_e64 v27, -v164, v164, s[34:35]
	v_add_f32_e32 v27, v27, v144
	v_cndmask_b32_e64 v144, -v165, v165, s[34:35]
	ds_bpermute_b32 v150, v145, v90
	ds_bpermute_b32 v151, v145, v91
	v_add_f32_e32 v158, v144, v146
	v_cndmask_b32_e64 v144, -v166, v166, s[34:35]
	ds_bpermute_b32 v28, v145, v12
	ds_bpermute_b32 v29, v145, v13
	;; [unrolled: 1-line block ×4, first 2 shown]
	s_waitcnt lgkmcnt(6)
	v_add_f32_e32 v159, v144, v148
	ds_bpermute_b32 v144, v147, v167
	v_cndmask_b32_e64 v89, -v89, v89, s[30:31]
	v_cndmask_b32_e64 v88, -v88, v88, s[30:31]
	;; [unrolled: 1-line block ×5, first 2 shown]
	ds_bpermute_b32 v148, v147, v168
	v_cndmask_b32_e64 v13, -v13, v13, s[30:31]
	v_cndmask_b32_e64 v12, -v12, v12, s[30:31]
	v_cndmask_b32_e64 v15, -v15, v15, s[30:31]
	v_cndmask_b32_e64 v14, -v14, v14, s[30:31]
	s_waitcnt lgkmcnt(6)
	v_pk_add_f32 v[90:91], v[90:91], v[150:151]
	v_pk_add_f32 v[88:89], v[88:89], v[142:143]
	s_waitcnt lgkmcnt(0)
	s_barrier
	ds_read_b128 v[92:95], v193
	ds_read_b128 v[84:87], v193 offset:4096
	ds_read_b128 v[68:71], v193 offset:8192
	;; [unrolled: 1-line block ×7, first 2 shown]
	ds_bpermute_b32 v138, v145, v80
	ds_bpermute_b32 v139, v145, v81
	;; [unrolled: 1-line block ×4, first 2 shown]
	v_add_f32_e32 v160, v146, v144
	ds_bpermute_b32 v144, v147, v169
	s_waitcnt lgkmcnt(0)
	s_barrier
	ds_write_b128 v193, v[0:3]
	ds_bpermute_b32 v0, v147, v171
	v_pk_add_f32 v[14:15], v[14:15], v[30:31]
	v_pk_add_f32 v[12:13], v[12:13], v[28:29]
	ds_bpermute_b32 v142, v147, v88
	ds_bpermute_b32 v143, v147, v89
	ds_bpermute_b32 v150, v147, v90
	ds_bpermute_b32 v151, v147, v91
	ds_bpermute_b32 v152, v147, v170
	ds_bpermute_b32 v2, v147, v172
	ds_bpermute_b32 v28, v147, v12
	ds_bpermute_b32 v29, v147, v13
	ds_bpermute_b32 v30, v147, v14
	ds_bpermute_b32 v31, v147, v15
	v_cndmask_b32_e64 v146, -v168, v168, s[34:35]
	v_add_f32_e32 v161, v146, v148
	v_cndmask_b32_e64 v146, -v169, v169, s[34:35]
	v_cndmask_b32_e64 v1, -v171, v171, s[34:35]
	;; [unrolled: 1-line block ×10, first 2 shown]
	v_add_f32_e32 v168, v146, v144
	v_cndmask_b32_e64 v144, -v170, v170, s[34:35]
	s_waitcnt lgkmcnt(10)
	v_add_f32_e32 v170, v1, v0
	v_cndmask_b32_e64 v0, -v172, v172, s[34:35]
	v_cndmask_b32_e64 v13, -v13, v13, s[34:35]
	;; [unrolled: 1-line block ×5, first 2 shown]
	s_waitcnt lgkmcnt(6)
	v_pk_add_f32 v[90:91], v[90:91], v[150:151]
	v_pk_add_f32 v[88:89], v[88:89], v[142:143]
	;; [unrolled: 1-line block ×4, first 2 shown]
	ds_bpermute_b32 v134, v145, v76
	ds_bpermute_b32 v135, v145, v77
	;; [unrolled: 1-line block ×4, first 2 shown]
	s_waitcnt lgkmcnt(9)
	v_add_f32_e32 v169, v144, v152
	s_waitcnt lgkmcnt(8)
	v_add_f32_e32 v171, v0, v2
	ds_write_b128 v193, v[4:7] offset:4096
	ds_write_b128 v193, v[8:11] offset:8192
	;; [unrolled: 1-line block ×7, first 2 shown]
	s_waitcnt lgkmcnt(0)
	s_barrier
	ds_read_b128 v[16:19], v149
	ds_read_b128 v[0:3], v149 offset:4096
	ds_read_b128 v[20:23], v149 offset:8192
	;; [unrolled: 1-line block ×5, first 2 shown]
	v_pk_add_f32 v[160:161], v[14:15], v[30:31]
	v_pk_add_f32 v[158:159], v[12:13], v[28:29]
	ds_read_b128 v[28:31], v149 offset:24576
	ds_read_b128 v[12:15], v149 offset:28672
	s_waitcnt lgkmcnt(0)
	s_barrier
	ds_write_b128 v193, v[88:91] offset:4096
	ds_bpermute_b32 v88, v147, v80
	ds_bpermute_b32 v89, v147, v81
	ds_bpermute_b32 v90, v147, v82
	ds_bpermute_b32 v91, v147, v83
	v_cndmask_b32_e64 v81, -v81, v81, s[34:35]
	v_cndmask_b32_e64 v80, -v80, v80, s[34:35]
	v_cndmask_b32_e64 v83, -v83, v83, s[34:35]
	v_cndmask_b32_e64 v82, -v82, v82, s[34:35]
	v_cndmask_b32_e64 v77, -v77, v77, s[30:31]
	v_cndmask_b32_e64 v76, -v76, v76, s[30:31]
	v_cndmask_b32_e64 v79, -v79, v79, s[30:31]
	v_cndmask_b32_e64 v78, -v78, v78, s[30:31]
	s_waitcnt lgkmcnt(0)
	v_pk_add_f32 v[82:83], v[82:83], v[90:91]
	v_pk_add_f32 v[80:81], v[80:81], v[88:89]
	v_pk_add_f32 v[78:79], v[78:79], v[136:137]
	v_pk_add_f32 v[76:77], v[76:77], v[134:135]
	ds_bpermute_b32 v128, v145, v72
	ds_bpermute_b32 v129, v145, v73
	ds_bpermute_b32 v130, v145, v74
	ds_bpermute_b32 v131, v145, v75
	ds_write_b128 v193, v[80:83] offset:8192
	ds_bpermute_b32 v80, v147, v76
	ds_bpermute_b32 v81, v147, v77
	ds_bpermute_b32 v82, v147, v78
	ds_bpermute_b32 v83, v147, v79
	v_cndmask_b32_e64 v77, -v77, v77, s[34:35]
	v_cndmask_b32_e64 v76, -v76, v76, s[34:35]
	v_cndmask_b32_e64 v79, -v79, v79, s[34:35]
	v_cndmask_b32_e64 v78, -v78, v78, s[34:35]
	v_cndmask_b32_e64 v73, -v73, v73, s[30:31]
	v_cndmask_b32_e64 v72, -v72, v72, s[30:31]
	v_cndmask_b32_e64 v75, -v75, v75, s[30:31]
	v_cndmask_b32_e64 v74, -v74, v74, s[30:31]
	s_waitcnt lgkmcnt(0)
	v_pk_add_f32 v[78:79], v[78:79], v[82:83]
	v_pk_add_f32 v[76:77], v[76:77], v[80:81]
	v_pk_add_f32 v[74:75], v[74:75], v[130:131]
	v_pk_add_f32 v[72:73], v[72:73], v[128:129]
	ds_bpermute_b32 v124, v145, v44
	ds_bpermute_b32 v125, v145, v45
	ds_bpermute_b32 v126, v145, v46
	ds_bpermute_b32 v127, v145, v47
	;; [unrolled: 22-line block ×4, first 2 shown]
	ds_bpermute_b32 v154, v145, v52
	ds_bpermute_b32 v155, v145, v53
	;; [unrolled: 1-line block ×4, first 2 shown]
	ds_write_b128 v193, v[44:47] offset:20480
	ds_bpermute_b32 v44, v147, v40
	ds_bpermute_b32 v45, v147, v41
	ds_bpermute_b32 v46, v147, v42
	ds_bpermute_b32 v47, v147, v43
	v_cndmask_b32_e64 v41, -v41, v41, s[34:35]
	v_cndmask_b32_e64 v40, -v40, v40, s[34:35]
	;; [unrolled: 1-line block ×12, first 2 shown]
	s_waitcnt lgkmcnt(0)
	v_pk_add_f32 v[42:43], v[42:43], v[46:47]
	v_pk_add_f32 v[40:41], v[40:41], v[44:45]
	;; [unrolled: 1-line block ×6, first 2 shown]
	ds_bpermute_b32 v172, v145, v120
	ds_bpermute_b32 v173, v145, v121
	ds_bpermute_b32 v178, v145, v122
	ds_bpermute_b32 v179, v145, v123
	ds_write_b128 v193, v[40:43] offset:24576
	ds_bpermute_b32 v40, v147, v36
	ds_bpermute_b32 v41, v147, v37
	ds_bpermute_b32 v42, v147, v38
	ds_bpermute_b32 v43, v147, v39
	ds_bpermute_b32 v88, v147, v52
	ds_bpermute_b32 v89, v147, v53
	ds_bpermute_b32 v90, v147, v54
	ds_bpermute_b32 v91, v147, v55
	v_cndmask_b32_e64 v37, -v37, v37, s[34:35]
	v_cndmask_b32_e64 v36, -v36, v36, s[34:35]
	;; [unrolled: 1-line block ×12, first 2 shown]
	s_waitcnt lgkmcnt(4)
	v_pk_add_f32 v[38:39], v[38:39], v[42:43]
	v_pk_add_f32 v[36:37], v[36:37], v[40:41]
	s_waitcnt lgkmcnt(0)
	v_pk_add_f32 v[126:127], v[54:55], v[90:91]
	v_pk_add_f32 v[124:125], v[52:53], v[88:89]
	;; [unrolled: 1-line block ×4, first 2 shown]
	ds_write_b128 v193, v[158:161]
	ds_bpermute_b32 v164, v145, v116
	ds_bpermute_b32 v165, v145, v117
	;; [unrolled: 1-line block ×4, first 2 shown]
	ds_write_b128 v193, v[36:39] offset:28672
	s_waitcnt lgkmcnt(0)
	s_barrier
	ds_read_b128 v[72:75], v149
	ds_read_b128 v[36:39], v149 offset:4096
	ds_read_b128 v[76:79], v149 offset:8192
	;; [unrolled: 1-line block ×7, first 2 shown]
	s_waitcnt lgkmcnt(0)
	s_barrier
	ds_write_b128 v193, v[124:127]
	ds_bpermute_b32 v124, v147, v120
	ds_bpermute_b32 v125, v147, v121
	ds_bpermute_b32 v126, v147, v122
	ds_bpermute_b32 v127, v147, v123
	v_cndmask_b32_e64 v121, -v121, v121, s[34:35]
	v_cndmask_b32_e64 v120, -v120, v120, s[34:35]
	v_cndmask_b32_e64 v123, -v123, v123, s[34:35]
	v_cndmask_b32_e64 v122, -v122, v122, s[34:35]
	v_cndmask_b32_e64 v117, -v117, v117, s[30:31]
	v_cndmask_b32_e64 v116, -v116, v116, s[30:31]
	v_cndmask_b32_e64 v119, -v119, v119, s[30:31]
	v_cndmask_b32_e64 v118, -v118, v118, s[30:31]
	s_waitcnt lgkmcnt(0)
	v_pk_add_f32 v[122:123], v[122:123], v[126:127]
	v_pk_add_f32 v[120:121], v[120:121], v[124:125]
	v_pk_add_f32 v[118:119], v[118:119], v[170:171]
	v_pk_add_f32 v[116:117], v[116:117], v[164:165]
	ds_bpermute_b32 v160, v145, v112
	ds_bpermute_b32 v161, v145, v113
	ds_bpermute_b32 v168, v145, v114
	ds_bpermute_b32 v169, v145, v115
	ds_write_b128 v193, v[120:123] offset:4096
	ds_bpermute_b32 v120, v147, v116
	ds_bpermute_b32 v121, v147, v117
	ds_bpermute_b32 v122, v147, v118
	ds_bpermute_b32 v123, v147, v119
	v_cndmask_b32_e64 v117, -v117, v117, s[34:35]
	v_cndmask_b32_e64 v116, -v116, v116, s[34:35]
	v_cndmask_b32_e64 v119, -v119, v119, s[34:35]
	v_cndmask_b32_e64 v118, -v118, v118, s[34:35]
	v_cndmask_b32_e64 v113, -v113, v113, s[30:31]
	v_cndmask_b32_e64 v112, -v112, v112, s[30:31]
	v_cndmask_b32_e64 v115, -v115, v115, s[30:31]
	v_cndmask_b32_e64 v114, -v114, v114, s[30:31]
	s_waitcnt lgkmcnt(0)
	v_pk_add_f32 v[118:119], v[118:119], v[122:123]
	v_pk_add_f32 v[116:117], v[116:117], v[120:121]
	v_pk_add_f32 v[114:115], v[114:115], v[168:169]
	v_pk_add_f32 v[112:113], v[112:113], v[160:161]
	ds_bpermute_b32 v152, v145, v108
	ds_bpermute_b32 v153, v145, v109
	ds_bpermute_b32 v158, v145, v110
	ds_bpermute_b32 v159, v145, v111
	ds_write_b128 v193, v[116:119] offset:8192
	ds_bpermute_b32 v116, v147, v112
	ds_bpermute_b32 v117, v147, v113
	ds_bpermute_b32 v118, v147, v114
	ds_bpermute_b32 v119, v147, v115
	v_cndmask_b32_e64 v113, -v113, v113, s[34:35]
	v_cndmask_b32_e64 v112, -v112, v112, s[34:35]
	v_cndmask_b32_e64 v115, -v115, v115, s[34:35]
	v_cndmask_b32_e64 v114, -v114, v114, s[34:35]
	v_cndmask_b32_e64 v109, -v109, v109, s[30:31]
	v_cndmask_b32_e64 v108, -v108, v108, s[30:31]
	v_cndmask_b32_e64 v111, -v111, v111, s[30:31]
	v_cndmask_b32_e64 v110, -v110, v110, s[30:31]
	s_waitcnt lgkmcnt(0)
	v_pk_add_f32 v[114:115], v[114:115], v[118:119]
	v_pk_add_f32 v[112:113], v[112:113], v[116:117]
	v_pk_add_f32 v[110:111], v[110:111], v[158:159]
	v_pk_add_f32 v[108:109], v[108:109], v[152:153]
	ds_bpermute_b32 v142, v145, v104
	ds_bpermute_b32 v143, v145, v105
	ds_bpermute_b32 v150, v145, v106
	ds_bpermute_b32 v151, v145, v107
	ds_write_b128 v193, v[112:115] offset:12288
	ds_bpermute_b32 v112, v147, v108
	ds_bpermute_b32 v113, v147, v109
	ds_bpermute_b32 v114, v147, v110
	ds_bpermute_b32 v115, v147, v111
	v_cndmask_b32_e64 v109, -v109, v109, s[34:35]
	v_cndmask_b32_e64 v108, -v108, v108, s[34:35]
	v_cndmask_b32_e64 v111, -v111, v111, s[34:35]
	v_cndmask_b32_e64 v110, -v110, v110, s[34:35]
	v_cndmask_b32_e64 v105, -v105, v105, s[30:31]
	v_cndmask_b32_e64 v104, -v104, v104, s[30:31]
	v_cndmask_b32_e64 v107, -v107, v107, s[30:31]
	v_cndmask_b32_e64 v106, -v106, v106, s[30:31]
	s_waitcnt lgkmcnt(0)
	v_pk_add_f32 v[110:111], v[110:111], v[114:115]
	v_pk_add_f32 v[108:109], v[108:109], v[112:113]
	v_pk_add_f32 v[106:107], v[106:107], v[150:151]
	v_pk_add_f32 v[104:105], v[104:105], v[142:143]
	ds_bpermute_b32 v138, v145, v100
	ds_bpermute_b32 v139, v145, v101
	ds_bpermute_b32 v140, v145, v102
	ds_bpermute_b32 v141, v145, v103
	ds_write_b128 v193, v[108:111] offset:16384
	ds_bpermute_b32 v108, v147, v104
	ds_bpermute_b32 v109, v147, v105
	;; [unrolled: 1-line block ×4, first 2 shown]
	v_cndmask_b32_e64 v105, -v105, v105, s[34:35]
	v_cndmask_b32_e64 v104, -v104, v104, s[34:35]
	;; [unrolled: 1-line block ×8, first 2 shown]
	s_waitcnt lgkmcnt(0)
	v_pk_add_f32 v[106:107], v[106:107], v[110:111]
	v_pk_add_f32 v[104:105], v[104:105], v[108:109]
	;; [unrolled: 1-line block ×4, first 2 shown]
	ds_bpermute_b32 v134, v145, v96
	ds_bpermute_b32 v135, v145, v97
	;; [unrolled: 1-line block ×8, first 2 shown]
	ds_write_b128 v193, v[104:107] offset:20480
	ds_bpermute_b32 v104, v147, v100
	ds_bpermute_b32 v105, v147, v101
	;; [unrolled: 1-line block ×4, first 2 shown]
	v_cndmask_b32_e64 v101, -v101, v101, s[34:35]
	v_cndmask_b32_e64 v100, -v100, v100, s[34:35]
	;; [unrolled: 1-line block ×12, first 2 shown]
	s_waitcnt lgkmcnt(0)
	v_pk_add_f32 v[102:103], v[102:103], v[106:107]
	v_pk_add_f32 v[100:101], v[100:101], v[104:105]
	;; [unrolled: 1-line block ×6, first 2 shown]
	ds_bpermute_b32 v176, v145, v84
	ds_bpermute_b32 v177, v145, v85
	;; [unrolled: 1-line block ×4, first 2 shown]
	ds_write_b128 v193, v[100:103] offset:24576
	ds_bpermute_b32 v100, v147, v96
	ds_bpermute_b32 v101, v147, v97
	;; [unrolled: 1-line block ×8, first 2 shown]
	v_cndmask_b32_e64 v97, -v97, v97, s[34:35]
	v_cndmask_b32_e64 v96, -v96, v96, s[34:35]
	;; [unrolled: 1-line block ×12, first 2 shown]
	s_waitcnt lgkmcnt(4)
	v_pk_add_f32 v[98:99], v[98:99], v[102:103]
	v_pk_add_f32 v[96:97], v[96:97], v[100:101]
	s_waitcnt lgkmcnt(0)
	v_pk_add_f32 v[130:131], v[136:137], v[130:131]
	v_pk_add_f32 v[128:129], v[134:135], v[128:129]
	;; [unrolled: 1-line block ×4, first 2 shown]
	ds_bpermute_b32 v172, v145, v68
	ds_bpermute_b32 v173, v145, v69
	;; [unrolled: 1-line block ×4, first 2 shown]
	ds_write_b128 v193, v[96:99] offset:28672
	s_waitcnt lgkmcnt(0)
	s_barrier
	ds_read_b128 v[108:111], v149
	ds_read_b128 v[96:99], v149 offset:4096
	ds_read_b128 v[112:115], v149 offset:8192
	ds_read_b128 v[100:103], v149 offset:12288
	ds_read_b128 v[116:119], v149 offset:16384
	ds_read_b128 v[104:107], v149 offset:20480
	ds_read_b128 v[120:123], v149 offset:24576
	ds_read_b128 v[92:95], v149 offset:28672
	s_waitcnt lgkmcnt(0)
	s_barrier
	ds_write_b128 v193, v[128:131]
	ds_bpermute_b32 v128, v147, v84
	ds_bpermute_b32 v129, v147, v85
	ds_bpermute_b32 v130, v147, v86
	ds_bpermute_b32 v131, v147, v87
	v_cndmask_b32_e64 v85, -v85, v85, s[34:35]
	v_cndmask_b32_e64 v84, -v84, v84, s[34:35]
	v_cndmask_b32_e64 v87, -v87, v87, s[34:35]
	v_cndmask_b32_e64 v86, -v86, v86, s[34:35]
	v_cndmask_b32_e64 v69, -v69, v69, s[30:31]
	v_cndmask_b32_e64 v68, -v68, v68, s[30:31]
	v_cndmask_b32_e64 v71, -v71, v71, s[30:31]
	v_cndmask_b32_e64 v70, -v70, v70, s[30:31]
	s_waitcnt lgkmcnt(0)
	v_pk_add_f32 v[86:87], v[86:87], v[130:131]
	v_pk_add_f32 v[84:85], v[84:85], v[128:129]
	v_pk_add_f32 v[70:71], v[70:71], v[174:175]
	v_pk_add_f32 v[68:69], v[68:69], v[172:173]
	ds_bpermute_b32 v166, v145, v64
	ds_bpermute_b32 v167, v145, v65
	ds_bpermute_b32 v170, v145, v66
	ds_bpermute_b32 v171, v145, v67
	ds_write_b128 v193, v[84:87] offset:4096
	ds_bpermute_b32 v84, v147, v68
	ds_bpermute_b32 v85, v147, v69
	ds_bpermute_b32 v86, v147, v70
	ds_bpermute_b32 v87, v147, v71
	v_cndmask_b32_e64 v69, -v69, v69, s[34:35]
	v_cndmask_b32_e64 v68, -v68, v68, s[34:35]
	v_cndmask_b32_e64 v71, -v71, v71, s[34:35]
	v_cndmask_b32_e64 v70, -v70, v70, s[34:35]
	v_cndmask_b32_e64 v65, -v65, v65, s[30:31]
	v_cndmask_b32_e64 v64, -v64, v64, s[30:31]
	v_cndmask_b32_e64 v67, -v67, v67, s[30:31]
	v_cndmask_b32_e64 v66, -v66, v66, s[30:31]
	s_waitcnt lgkmcnt(0)
	v_pk_add_f32 v[70:71], v[70:71], v[86:87]
	v_pk_add_f32 v[68:69], v[68:69], v[84:85]
	v_pk_add_f32 v[66:67], v[66:67], v[170:171]
	v_pk_add_f32 v[64:65], v[64:65], v[166:167]
	ds_bpermute_b32 v162, v145, v60
	ds_bpermute_b32 v163, v145, v61
	ds_bpermute_b32 v164, v145, v62
	ds_bpermute_b32 v165, v145, v63
	ds_write_b128 v193, v[68:71] offset:8192
	;; [unrolled: 22-line block ×5, first 2 shown]
	ds_bpermute_b32 v56, v147, v48
	ds_bpermute_b32 v57, v147, v49
	;; [unrolled: 1-line block ×4, first 2 shown]
	v_cndmask_b32_e64 v49, -v49, v49, s[34:35]
	v_cndmask_b32_e64 v48, -v48, v48, s[34:35]
	;; [unrolled: 1-line block ×8, first 2 shown]
	s_waitcnt lgkmcnt(0)
	v_pk_add_f32 v[50:51], v[50:51], v[58:59]
	v_pk_add_f32 v[48:49], v[48:49], v[56:57]
	;; [unrolled: 1-line block ×4, first 2 shown]
	ds_write_b128 v193, v[48:51] offset:24576
	ds_bpermute_b32 v48, v147, v32
	ds_bpermute_b32 v49, v147, v33
	;; [unrolled: 1-line block ×4, first 2 shown]
	v_cndmask_b32_e64 v33, -v33, v33, s[34:35]
	v_cndmask_b32_e64 v32, -v32, v32, s[34:35]
	;; [unrolled: 1-line block ×4, first 2 shown]
	s_waitcnt lgkmcnt(0)
	v_pk_add_f32 v[34:35], v[34:35], v[50:51]
	v_pk_add_f32 v[32:33], v[32:33], v[48:49]
	ds_write_b128 v193, v[32:35] offset:28672
	s_waitcnt lgkmcnt(0)
	s_barrier
	ds_read_b128 v[64:67], v149
	ds_read_b128 v[32:35], v149 offset:4096
	ds_read_b128 v[68:71], v149 offset:8192
	ds_read_b128 v[48:51], v149 offset:12288
	ds_read_b128 v[84:87], v149 offset:16384
	ds_read_b128 v[56:59], v149 offset:20480
	ds_read_b128 v[124:127], v149 offset:24576
	ds_read_b128 v[60:63], v149 offset:28672
	v_mov_b32_e32 v128, v16
	v_mov_b32_e32 v129, v24
	v_mov_b32_e32 v130, v20
	v_mov_b32_e32 v131, v28
	v_pk_add_f32 v[140:141], v[128:129], v[130:131]
	v_mov_b32_e32 v128, v72
	v_mov_b32_e32 v129, v80
	v_mov_b32_e32 v130, v76
	v_mov_b32_e32 v131, v88
	v_pk_add_f32 v[142:143], v[128:129], v[130:131]
	;; [unrolled: 5-line block ×3, first 2 shown]
	s_waitcnt lgkmcnt(7)
	v_mov_b32_e32 v128, v64
	s_waitcnt lgkmcnt(3)
	v_mov_b32_e32 v129, v84
	v_mov_b32_e32 v130, v68
	s_waitcnt lgkmcnt(1)
	v_mov_b32_e32 v131, v124
	v_pk_add_f32 v[152:153], v[128:129], v[130:131]
	v_mov_b32_e32 v154, v141
	v_mov_b32_e32 v156, v143
	;; [unrolled: 1-line block ×4, first 2 shown]
	v_pk_add_f32 v[132:133], v[140:141], v[154:155]
	v_pk_add_f32 v[134:135], v[142:143], v[156:157]
	;; [unrolled: 1-line block ×6, first 2 shown]
	v_accvgpr_write_b32 a36, v128
	v_add_f32_e32 v128, v128, v130
	v_mul_f32_e32 v128, s33, v128
	s_mov_b32 s4, 0x7f800000
	v_and_b32_e32 v129, 0x7f800000, v128
	v_accvgpr_write_b32 a38, v130
	v_cmp_ne_u32_e64 s[4:5], s4, v129
                                        ; implicit-def: $agpr13
	s_and_saveexec_b64 s[30:31], s[4:5]
	s_xor_b64 s[4:5], exec, s[30:31]
; %bb.33:
	v_bfe_u32 v129, v128, 16, 1
	s_movk_i32 s30, 0x7fff
	v_add3_u32 v128, v128, v129, s30
	v_accvgpr_write_b32 a13, v128
                                        ; implicit-def: $vgpr128
; %bb.34:
	s_andn2_saveexec_b64 s[30:31], s[4:5]
; %bb.35:
	v_mov_b32_e32 v129, 0
	v_or_b32_e32 v130, 0x10000, v128
	v_cmp_eq_u32_sdwa s[4:5], v128, v129 src0_sel:WORD_0 src1_sel:DWORD
	v_cndmask_b32_e64 v128, v130, v128, s[4:5]
	v_accvgpr_write_b32 a13, v128
; %bb.36:
	s_or_b64 exec, exec, s[30:31]
	v_add_f32_e32 v129, v17, v21
	v_add_f32_e32 v131, v25, v29
	;; [unrolled: 1-line block ×14, first 2 shown]
	v_accvgpr_write_b32 a37, v128
	v_add_f32_e32 v128, v128, v130
	v_mul_f32_e32 v128, s33, v128
	v_accvgpr_write_b32 a39, v130
	s_mov_b32 s4, 0x7f800000
	v_and_b32_e32 v130, 0x7f800000, v128
	v_cmp_ne_u32_e64 s[4:5], s4, v130
                                        ; implicit-def: $agpr15
	s_and_saveexec_b64 s[30:31], s[4:5]
	s_xor_b64 s[4:5], exec, s[30:31]
; %bb.37:
	v_bfe_u32 v130, v128, 16, 1
	s_movk_i32 s30, 0x7fff
	v_add3_u32 v128, v128, v130, s30
	v_accvgpr_write_b32 a15, v128
                                        ; implicit-def: $vgpr128
; %bb.38:
	s_andn2_saveexec_b64 s[30:31], s[4:5]
; %bb.39:
	v_mov_b32_e32 v130, 0
	v_or_b32_e32 v144, 0x10000, v128
	v_cmp_eq_u32_sdwa s[4:5], v128, v130 src0_sel:WORD_0 src1_sel:DWORD
	v_cndmask_b32_e64 v128, v144, v128, s[4:5]
	v_accvgpr_write_b32 a15, v128
; %bb.40:
	s_or_b64 exec, exec, s[30:31]
	v_add_f32_e32 v180, v18, v22
	v_add_f32_e32 v181, v26, v30
	;; [unrolled: 1-line block ×14, first 2 shown]
	v_accvgpr_write_b32 a40, v128
	v_add_f32_e32 v128, v128, v130
	v_mul_f32_e32 v128, s33, v128
	v_accvgpr_write_b32 a41, v130
	s_mov_b32 s4, 0x7f800000
	v_and_b32_e32 v130, 0x7f800000, v128
	v_cmp_ne_u32_e64 s[4:5], s4, v130
                                        ; implicit-def: $agpr17
	s_and_saveexec_b64 s[30:31], s[4:5]
	s_xor_b64 s[4:5], exec, s[30:31]
; %bb.41:
	v_bfe_u32 v130, v128, 16, 1
	s_movk_i32 s30, 0x7fff
	v_add3_u32 v128, v128, v130, s30
	v_accvgpr_write_b32 a17, v128
                                        ; implicit-def: $vgpr128
; %bb.42:
	s_andn2_saveexec_b64 s[30:31], s[4:5]
; %bb.43:
	v_mov_b32_e32 v130, 0
	v_or_b32_e32 v144, 0x10000, v128
	v_cmp_eq_u32_sdwa s[4:5], v128, v130 src0_sel:WORD_0 src1_sel:DWORD
	v_cndmask_b32_e64 v128, v144, v128, s[4:5]
	v_accvgpr_write_b32 a17, v128
; %bb.44:
	s_or_b64 exec, exec, s[30:31]
	v_add_f32_e32 v188, v19, v23
	v_add_f32_e32 v189, v27, v31
	;; [unrolled: 1-line block ×14, first 2 shown]
	v_accvgpr_write_b32 a42, v128
	v_add_f32_e32 v128, v128, v130
	v_mul_f32_e32 v128, s33, v128
	v_accvgpr_write_b32 a43, v130
	s_mov_b32 s4, 0x7f800000
	v_and_b32_e32 v130, 0x7f800000, v128
	v_cmp_ne_u32_e64 s[4:5], s4, v130
                                        ; implicit-def: $agpr19
	s_and_saveexec_b64 s[30:31], s[4:5]
	s_xor_b64 s[4:5], exec, s[30:31]
; %bb.45:
	v_bfe_u32 v130, v128, 16, 1
	s_movk_i32 s30, 0x7fff
	v_add3_u32 v128, v128, v130, s30
	v_accvgpr_write_b32 a19, v128
                                        ; implicit-def: $vgpr128
; %bb.46:
	s_andn2_saveexec_b64 s[30:31], s[4:5]
; %bb.47:
	v_mov_b32_e32 v130, 0
	v_or_b32_e32 v144, 0x10000, v128
	v_cmp_eq_u32_sdwa s[4:5], v128, v130 src0_sel:WORD_0 src1_sel:DWORD
	v_cndmask_b32_e64 v128, v144, v128, s[4:5]
	v_accvgpr_write_b32 a19, v128
; %bb.48:
	s_or_b64 exec, exec, s[30:31]
	v_add_f32_e32 v237, v0, v4
	v_add_f32_e32 v238, v8, v12
	;; [unrolled: 1-line block ×7, first 2 shown]
	s_waitcnt lgkmcnt(0)
	v_add_f32_e32 v244, v56, v60
	v_add_f32_e32 v200, v237, v238
	;; [unrolled: 1-line block ×7, first 2 shown]
	v_accvgpr_write_b32 a44, v128
	v_add_f32_e32 v128, v128, v130
	v_mul_f32_e32 v128, s33, v128
	v_accvgpr_write_b32 a45, v130
	s_mov_b32 s4, 0x7f800000
	v_and_b32_e32 v130, 0x7f800000, v128
	v_cmp_ne_u32_e64 s[4:5], s4, v130
                                        ; implicit-def: $agpr20
	s_and_saveexec_b64 s[30:31], s[4:5]
	s_xor_b64 s[4:5], exec, s[30:31]
; %bb.49:
	v_bfe_u32 v130, v128, 16, 1
	s_movk_i32 s30, 0x7fff
	v_add3_u32 v128, v128, v130, s30
	v_accvgpr_write_b32 a20, v128
                                        ; implicit-def: $vgpr128
; %bb.50:
	s_andn2_saveexec_b64 s[30:31], s[4:5]
; %bb.51:
	v_mov_b32_e32 v130, 0
	v_or_b32_e32 v144, 0x10000, v128
	v_cmp_eq_u32_sdwa s[4:5], v128, v130 src0_sel:WORD_0 src1_sel:DWORD
	v_cndmask_b32_e64 v128, v144, v128, s[4:5]
	v_accvgpr_write_b32 a20, v128
; %bb.52:
	s_or_b64 exec, exec, s[30:31]
	v_add_f32_e32 v245, v1, v5
	v_add_f32_e32 v246, v9, v13
	;; [unrolled: 1-line block ×14, first 2 shown]
	v_accvgpr_write_b32 a46, v128
	v_add_f32_e32 v128, v128, v130
	v_mul_f32_e32 v128, s33, v128
	v_accvgpr_write_b32 a47, v130
	s_mov_b32 s4, 0x7f800000
	v_and_b32_e32 v130, 0x7f800000, v128
	v_cmp_ne_u32_e64 s[4:5], s4, v130
                                        ; implicit-def: $agpr21
	s_and_saveexec_b64 s[30:31], s[4:5]
	s_xor_b64 s[4:5], exec, s[30:31]
; %bb.53:
	v_bfe_u32 v130, v128, 16, 1
	s_movk_i32 s30, 0x7fff
	v_add3_u32 v128, v128, v130, s30
	v_accvgpr_write_b32 a21, v128
                                        ; implicit-def: $vgpr128
; %bb.54:
	s_andn2_saveexec_b64 s[30:31], s[4:5]
; %bb.55:
	v_mov_b32_e32 v130, 0
	v_or_b32_e32 v144, 0x10000, v128
	v_cmp_eq_u32_sdwa s[4:5], v128, v130 src0_sel:WORD_0 src1_sel:DWORD
	v_cndmask_b32_e64 v128, v144, v128, s[4:5]
	v_accvgpr_write_b32 a21, v128
; %bb.56:
	s_or_b64 exec, exec, s[30:31]
	v_add_f32_e32 v253, v2, v6
	v_add_f32_e32 v254, v10, v14
	;; [unrolled: 1-line block ×14, first 2 shown]
	v_accvgpr_write_b32 a48, v161
	v_add_f32_e32 v161, v161, v162
	v_mul_f32_e32 v161, s33, v161
	v_accvgpr_write_b32 a49, v162
	s_mov_b32 s4, 0x7f800000
	v_and_b32_e32 v162, 0x7f800000, v161
	v_cmp_ne_u32_e64 s[4:5], s4, v162
                                        ; implicit-def: $agpr22
	s_and_saveexec_b64 s[30:31], s[4:5]
	s_xor_b64 s[4:5], exec, s[30:31]
; %bb.57:
	v_bfe_u32 v162, v161, 16, 1
	s_movk_i32 s30, 0x7fff
	v_add3_u32 v161, v161, v162, s30
	v_accvgpr_write_b32 a22, v161
                                        ; implicit-def: $vgpr161
; %bb.58:
	s_andn2_saveexec_b64 s[30:31], s[4:5]
; %bb.59:
	v_mov_b32_e32 v162, 0
	v_or_b32_e32 v163, 0x10000, v161
	v_cmp_eq_u32_sdwa s[4:5], v161, v162 src0_sel:WORD_0 src1_sel:DWORD
	v_cndmask_b32_e64 v161, v163, v161, s[4:5]
	v_accvgpr_write_b32 a22, v161
; %bb.60:
	s_or_b64 exec, exec, s[30:31]
	v_add_f32_e32 v161, v3, v7
	v_add_f32_e32 v162, v11, v15
	;; [unrolled: 1-line block ×14, first 2 shown]
	v_accvgpr_write_b32 a50, v169
	v_add_f32_e32 v169, v169, v170
	v_mul_f32_e32 v169, s33, v169
	v_accvgpr_write_b32 a51, v170
	s_mov_b32 s4, 0x7f800000
	v_and_b32_e32 v170, 0x7f800000, v169
	v_cmp_ne_u32_e64 s[4:5], s4, v170
                                        ; implicit-def: $agpr23
	s_and_saveexec_b64 s[30:31], s[4:5]
	s_xor_b64 s[4:5], exec, s[30:31]
; %bb.61:
	v_bfe_u32 v170, v169, 16, 1
	s_movk_i32 s30, 0x7fff
	v_add3_u32 v169, v169, v170, s30
	v_accvgpr_write_b32 a23, v169
                                        ; implicit-def: $vgpr169
; %bb.62:
	s_andn2_saveexec_b64 s[30:31], s[4:5]
; %bb.63:
	v_mov_b32_e32 v170, 0
	v_or_b32_e32 v171, 0x10000, v169
	v_cmp_eq_u32_sdwa s[4:5], v169, v170 src0_sel:WORD_0 src1_sel:DWORD
	v_cndmask_b32_e64 v169, v171, v169, s[4:5]
	v_accvgpr_write_b32 a23, v169
; %bb.64:
	s_or_b64 exec, exec, s[30:31]
	v_sub_f32_e32 v16, v16, v20
	v_sub_f32_e32 v20, v24, v28
	;; [unrolled: 1-line block ×8, first 2 shown]
	v_add_f32_e32 v216, v16, v20
	v_add_f32_e32 v217, v24, v28
	;; [unrolled: 1-line block ×7, first 2 shown]
	v_mul_f32_e32 v72, s33, v72
	s_mov_b32 s4, 0x7f800000
	v_and_b32_e32 v76, 0x7f800000, v72
	v_cmp_ne_u32_e64 s[4:5], s4, v76
                                        ; implicit-def: $agpr24
	s_and_saveexec_b64 s[30:31], s[4:5]
	s_xor_b64 s[4:5], exec, s[30:31]
; %bb.65:
	v_bfe_u32 v76, v72, 16, 1
	s_movk_i32 s30, 0x7fff
	v_add3_u32 v72, v72, v76, s30
	v_accvgpr_write_b32 a24, v72
                                        ; implicit-def: $vgpr72
; %bb.66:
	s_andn2_saveexec_b64 s[30:31], s[4:5]
; %bb.67:
	v_mov_b32_e32 v76, 0
	v_or_b32_e32 v80, 0x10000, v72
	v_cmp_eq_u32_sdwa s[4:5], v72, v76 src0_sel:WORD_0 src1_sel:DWORD
	v_cndmask_b32_e64 v72, v80, v72, s[4:5]
	v_accvgpr_write_b32 a24, v72
; %bb.68:
	s_or_b64 exec, exec, s[30:31]
	v_sub_f32_e32 v17, v17, v21
	v_sub_f32_e32 v21, v25, v29
	v_sub_f32_e32 v124, v73, v77
	v_sub_f32_e32 v25, v81, v89
	v_sub_f32_e32 v109, v109, v113
	v_sub_f32_e32 v113, v117, v121
	v_sub_f32_e32 v117, v65, v69
	v_sub_f32_e32 v121, v85, v125
	v_add_f32_e32 v220, v17, v21
	v_add_f32_e32 v221, v124, v25
	v_add_f32_e32 v222, v109, v113
	v_add_f32_e32 v223, v117, v121
	v_add_f32_e32 v65, v220, v221
	v_add_f32_e32 v69, v222, v223
	v_add_f32_e32 v29, v65, v69
	v_mul_f32_e32 v29, s33, v29
	s_mov_b32 s4, 0x7f800000
	v_and_b32_e32 v72, 0x7f800000, v29
	v_cmp_ne_u32_e64 s[4:5], s4, v72
                                        ; implicit-def: $agpr25
	s_and_saveexec_b64 s[30:31], s[4:5]
	s_xor_b64 s[4:5], exec, s[30:31]
; %bb.69:
	v_bfe_u32 v72, v29, 16, 1
	s_movk_i32 s30, 0x7fff
	v_add3_u32 v29, v29, v72, s30
	v_accvgpr_write_b32 a25, v29
                                        ; implicit-def: $vgpr29
; %bb.70:
	s_andn2_saveexec_b64 s[30:31], s[4:5]
; %bb.71:
	v_mov_b32_e32 v72, 0
	v_or_b32_e32 v73, 0x10000, v29
	v_cmp_eq_u32_sdwa s[4:5], v29, v72 src0_sel:WORD_0 src1_sel:DWORD
	v_cndmask_b32_e64 v29, v73, v29, s[4:5]
	v_accvgpr_write_b32 a25, v29
; %bb.72:
	s_or_b64 exec, exec, s[30:31]
	v_sub_f32_e32 v18, v18, v22
	v_sub_f32_e32 v22, v26, v30
	;; [unrolled: 1-line block ×8, first 2 shown]
	v_add_f32_e32 v78, v18, v22
	v_add_f32_e32 v224, v125, v26
	;; [unrolled: 1-line block ×7, first 2 shown]
	v_mul_f32_e32 v29, s33, v29
	s_mov_b32 s4, 0x7f800000
	v_and_b32_e32 v30, 0x7f800000, v29
	v_cmp_ne_u32_e64 s[4:5], s4, v30
                                        ; implicit-def: $agpr26
	s_and_saveexec_b64 s[30:31], s[4:5]
	s_xor_b64 s[4:5], exec, s[30:31]
; %bb.73:
	v_bfe_u32 v30, v29, 16, 1
	s_movk_i32 s30, 0x7fff
	v_add3_u32 v29, v29, v30, s30
	v_accvgpr_write_b32 a26, v29
                                        ; implicit-def: $vgpr29
; %bb.74:
	s_andn2_saveexec_b64 s[30:31], s[4:5]
; %bb.75:
	v_mov_b32_e32 v30, 0
	v_or_b32_e32 v72, 0x10000, v29
	v_cmp_eq_u32_sdwa s[4:5], v29, v30 src0_sel:WORD_0 src1_sel:DWORD
	v_cndmask_b32_e64 v29, v72, v29, s[4:5]
	v_accvgpr_write_b32 a26, v29
; %bb.76:
	s_or_b64 exec, exec, s[30:31]
	v_sub_f32_e32 v19, v19, v23
	v_sub_f32_e32 v126, v27, v31
	v_sub_f32_e32 v23, v75, v79
	v_sub_f32_e32 v27, v83, v91
	v_sub_f32_e32 v111, v111, v115
	v_sub_f32_e32 v115, v119, v123
	v_sub_f32_e32 v119, v67, v71
	v_sub_f32_e32 v123, v87, v127
	v_add_f32_e32 v91, v19, v126
	v_add_f32_e32 v227, v23, v27
	;; [unrolled: 1-line block ×7, first 2 shown]
	v_mul_f32_e32 v29, s33, v29
	s_mov_b32 s4, 0x7f800000
	v_and_b32_e32 v30, 0x7f800000, v29
	v_cmp_ne_u32_e64 s[4:5], s4, v30
                                        ; implicit-def: $agpr27
	s_and_saveexec_b64 s[30:31], s[4:5]
	s_xor_b64 s[4:5], exec, s[30:31]
; %bb.77:
	v_bfe_u32 v30, v29, 16, 1
	s_movk_i32 s30, 0x7fff
	v_add3_u32 v29, v29, v30, s30
	v_accvgpr_write_b32 a27, v29
                                        ; implicit-def: $vgpr29
; %bb.78:
	s_andn2_saveexec_b64 s[30:31], s[4:5]
; %bb.79:
	v_mov_b32_e32 v30, 0
	v_or_b32_e32 v31, 0x10000, v29
	v_cmp_eq_u32_sdwa s[4:5], v29, v30 src0_sel:WORD_0 src1_sel:DWORD
	v_cndmask_b32_e64 v29, v31, v29, s[4:5]
	v_accvgpr_write_b32 a27, v29
; %bb.80:
	s_or_b64 exec, exec, s[30:31]
	v_sub_f32_e32 v4, v0, v4
	v_sub_f32_e32 v127, v8, v12
	;; [unrolled: 1-line block ×8, first 2 shown]
	v_add_f32_e32 v48, v4, v127
	v_add_f32_e32 v52, v36, v40
	;; [unrolled: 1-line block ×7, first 2 shown]
	v_mul_f32_e32 v0, s33, v0
	s_mov_b32 s4, 0x7f800000
	v_and_b32_e32 v8, 0x7f800000, v0
	v_cmp_ne_u32_e64 s[4:5], s4, v8
                                        ; implicit-def: $agpr28
	s_and_saveexec_b64 s[30:31], s[4:5]
	s_xor_b64 s[4:5], exec, s[30:31]
; %bb.81:
	v_bfe_u32 v8, v0, 16, 1
	s_movk_i32 s30, 0x7fff
	v_add3_u32 v0, v0, v8, s30
	v_accvgpr_write_b32 a28, v0
                                        ; implicit-def: $vgpr0
; %bb.82:
	s_andn2_saveexec_b64 s[30:31], s[4:5]
; %bb.83:
	v_mov_b32_e32 v8, 0
	v_or_b32_e32 v12, 0x10000, v0
	v_cmp_eq_u32_sdwa s[4:5], v0, v8 src0_sel:WORD_0 src1_sel:DWORD
	v_cndmask_b32_e64 v0, v12, v0, s[4:5]
	v_accvgpr_write_b32 a28, v0
; %bb.84:
	s_or_b64 exec, exec, s[30:31]
	v_sub_f32_e32 v5, v1, v5
	v_sub_f32_e32 v31, v9, v13
	;; [unrolled: 1-line block ×8, first 2 shown]
	v_add_f32_e32 v49, v5, v31
	v_add_f32_e32 v53, v37, v41
	;; [unrolled: 1-line block ×7, first 2 shown]
	v_mul_f32_e32 v0, s33, v0
	s_mov_b32 s4, 0x7f800000
	v_and_b32_e32 v1, 0x7f800000, v0
	v_cmp_ne_u32_e64 s[4:5], s4, v1
                                        ; implicit-def: $agpr29
	s_and_saveexec_b64 s[30:31], s[4:5]
	s_xor_b64 s[4:5], exec, s[30:31]
; %bb.85:
	v_bfe_u32 v1, v0, 16, 1
	s_movk_i32 s30, 0x7fff
	v_add3_u32 v0, v0, v1, s30
	v_accvgpr_write_b32 a29, v0
                                        ; implicit-def: $vgpr0
; %bb.86:
	s_andn2_saveexec_b64 s[30:31], s[4:5]
; %bb.87:
	v_mov_b32_e32 v1, 0
	v_or_b32_e32 v8, 0x10000, v0
	v_cmp_eq_u32_sdwa s[4:5], v0, v1 src0_sel:WORD_0 src1_sel:DWORD
	v_cndmask_b32_e64 v0, v8, v0, s[4:5]
	v_accvgpr_write_b32 a29, v0
; %bb.88:
	s_or_b64 exec, exec, s[30:31]
	v_sub_f32_e32 v6, v2, v6
	v_sub_f32_e32 v169, v10, v14
	;; [unrolled: 1-line block ×8, first 2 shown]
	v_add_f32_e32 v50, v6, v169
	v_add_f32_e32 v54, v38, v42
	;; [unrolled: 1-line block ×7, first 2 shown]
	v_mul_f32_e32 v0, s33, v0
	s_mov_b32 s4, 0x7f800000
	v_and_b32_e32 v1, 0x7f800000, v0
	v_cmp_ne_u32_e64 s[4:5], s4, v1
                                        ; implicit-def: $agpr30
	s_and_saveexec_b64 s[30:31], s[4:5]
	s_xor_b64 s[4:5], exec, s[30:31]
; %bb.89:
	v_bfe_u32 v1, v0, 16, 1
	s_movk_i32 s30, 0x7fff
	v_add3_u32 v0, v0, v1, s30
	v_accvgpr_write_b32 a30, v0
                                        ; implicit-def: $vgpr0
; %bb.90:
	s_andn2_saveexec_b64 s[30:31], s[4:5]
; %bb.91:
	v_mov_b32_e32 v1, 0
	v_or_b32_e32 v2, 0x10000, v0
	v_cmp_eq_u32_sdwa s[4:5], v0, v1 src0_sel:WORD_0 src1_sel:DWORD
	v_cndmask_b32_e64 v0, v2, v0, s[4:5]
	v_accvgpr_write_b32 a30, v0
; %bb.92:
	s_or_b64 exec, exec, s[30:31]
	v_sub_f32_e32 v7, v3, v7
	v_sub_f32_e32 v172, v11, v15
	;; [unrolled: 1-line block ×8, first 2 shown]
	v_add_f32_e32 v51, v7, v172
	v_add_f32_e32 v55, v39, v43
	;; [unrolled: 1-line block ×7, first 2 shown]
	v_mul_f32_e32 v0, s33, v0
	s_mov_b32 s4, 0x7f800000
	v_and_b32_e32 v1, 0x7f800000, v0
	v_cmp_ne_u32_e64 s[4:5], s4, v1
                                        ; implicit-def: $agpr31
	s_and_saveexec_b64 s[30:31], s[4:5]
	s_xor_b64 s[4:5], exec, s[30:31]
; %bb.93:
	v_bfe_u32 v1, v0, 16, 1
	s_movk_i32 s30, 0x7fff
	v_add3_u32 v0, v0, v1, s30
	v_accvgpr_write_b32 a31, v0
                                        ; implicit-def: $vgpr0
; %bb.94:
	s_andn2_saveexec_b64 s[30:31], s[4:5]
; %bb.95:
	v_mov_b32_e32 v1, 0
	v_or_b32_e32 v2, 0x10000, v0
	v_cmp_eq_u32_sdwa s[4:5], v0, v1 src0_sel:WORD_0 src1_sel:DWORD
	v_cndmask_b32_e64 v0, v2, v0, s[4:5]
	v_accvgpr_write_b32 a31, v0
; %bb.96:
	s_or_b64 exec, exec, s[30:31]
	v_pk_add_f32 v[8:9], v[140:141], v[154:155] neg_lo:[0,1] neg_hi:[0,1]
	v_pk_add_f32 v[10:11], v[142:143], v[156:157] neg_lo:[0,1] neg_hi:[0,1]
	v_pk_add_f32 v[12:13], v[150:151], v[158:159] neg_lo:[0,1] neg_hi:[0,1]
	v_pk_add_f32 v[14:15], v[152:153], v[160:161] neg_lo:[0,1] neg_hi:[0,1]
	v_pk_add_f32 v[0:1], v[8:9], v[10:11]
	v_pk_add_f32 v[2:3], v[12:13], v[14:15]
	v_add_f32_e32 v1, v0, v2
	v_mul_f32_e32 v1, s33, v1
	s_mov_b32 s4, 0x7f800000
	v_and_b32_e32 v3, 0x7f800000, v1
	v_cmp_ne_u32_e64 s[4:5], s4, v3
                                        ; implicit-def: $agpr32
	s_and_saveexec_b64 s[30:31], s[4:5]
	s_xor_b64 s[4:5], exec, s[30:31]
; %bb.97:
	v_bfe_u32 v3, v1, 16, 1
	s_movk_i32 s30, 0x7fff
	v_add3_u32 v1, v1, v3, s30
	v_accvgpr_write_b32 a32, v1
                                        ; implicit-def: $vgpr1
; %bb.98:
	s_andn2_saveexec_b64 s[30:31], s[4:5]
; %bb.99:
	v_mov_b32_e32 v3, 0
	v_or_b32_e32 v79, 0x10000, v1
	v_cmp_eq_u32_sdwa s[4:5], v1, v3 src0_sel:WORD_0 src1_sel:DWORD
	v_cndmask_b32_e64 v1, v79, v1, s[4:5]
	v_accvgpr_write_b32 a32, v1
; %bb.100:
	s_or_b64 exec, exec, s[30:31]
	v_sub_f32_e32 v151, v129, v131
	v_sub_f32_e32 v152, v145, v147
	v_sub_f32_e32 v153, v149, v155
	v_sub_f32_e32 v154, v157, v159
	v_add_f32_e32 v79, v151, v152
	v_add_f32_e32 v80, v153, v154
	;; [unrolled: 1-line block ×3, first 2 shown]
	v_mul_f32_e32 v1, s33, v1
	s_mov_b32 s4, 0x7f800000
	v_and_b32_e32 v3, 0x7f800000, v1
	v_cmp_ne_u32_e64 s[4:5], s4, v3
                                        ; implicit-def: $agpr33
	s_and_saveexec_b64 s[30:31], s[4:5]
	s_xor_b64 s[4:5], exec, s[30:31]
; %bb.101:
	v_bfe_u32 v3, v1, 16, 1
	s_movk_i32 s30, 0x7fff
	v_add3_u32 v1, v1, v3, s30
	v_accvgpr_write_b32 a33, v1
                                        ; implicit-def: $vgpr1
; %bb.102:
	s_andn2_saveexec_b64 s[30:31], s[4:5]
; %bb.103:
	v_mov_b32_e32 v3, 0
	v_or_b32_e32 v81, 0x10000, v1
	v_cmp_eq_u32_sdwa s[4:5], v1, v3 src0_sel:WORD_0 src1_sel:DWORD
	v_cndmask_b32_e64 v1, v81, v1, s[4:5]
	v_accvgpr_write_b32 a33, v1
; %bb.104:
	s_or_b64 exec, exec, s[30:31]
	v_sub_f32_e32 v156, v180, v181
	v_sub_f32_e32 v158, v182, v183
	;; [unrolled: 1-line block ×4, first 2 shown]
	v_add_f32_e32 v81, v156, v158
	v_add_f32_e32 v82, v160, v231
	;; [unrolled: 1-line block ×3, first 2 shown]
	v_mul_f32_e32 v1, s33, v1
	s_mov_b32 s4, 0x7f800000
	v_and_b32_e32 v3, 0x7f800000, v1
	v_cmp_ne_u32_e64 s[4:5], s4, v3
                                        ; implicit-def: $agpr34
	s_and_saveexec_b64 s[30:31], s[4:5]
	s_xor_b64 s[4:5], exec, s[30:31]
; %bb.105:
	v_bfe_u32 v3, v1, 16, 1
	s_movk_i32 s30, 0x7fff
	v_add3_u32 v1, v1, v3, s30
	v_accvgpr_write_b32 a34, v1
                                        ; implicit-def: $vgpr1
; %bb.106:
	s_andn2_saveexec_b64 s[30:31], s[4:5]
; %bb.107:
	v_mov_b32_e32 v3, 0
	v_or_b32_e32 v83, 0x10000, v1
	v_cmp_eq_u32_sdwa s[4:5], v1, v3 src0_sel:WORD_0 src1_sel:DWORD
	v_cndmask_b32_e64 v1, v83, v1, s[4:5]
	v_accvgpr_write_b32 a34, v1
; %bb.108:
	s_or_b64 exec, exec, s[30:31]
	v_sub_f32_e32 v232, v188, v189
	v_sub_f32_e32 v233, v190, v191
	;; [unrolled: 1-line block ×4, first 2 shown]
	v_add_f32_e32 v83, v232, v233
	v_add_f32_e32 v84, v234, v235
	;; [unrolled: 1-line block ×3, first 2 shown]
	v_mul_f32_e32 v1, s33, v1
	s_mov_b32 s4, 0x7f800000
	v_and_b32_e32 v3, 0x7f800000, v1
	v_cmp_ne_u32_e64 s[4:5], s4, v3
                                        ; implicit-def: $agpr35
	s_and_saveexec_b64 s[30:31], s[4:5]
	s_xor_b64 s[4:5], exec, s[30:31]
; %bb.109:
	v_bfe_u32 v3, v1, 16, 1
	s_movk_i32 s30, 0x7fff
	v_add3_u32 v1, v1, v3, s30
	v_accvgpr_write_b32 a35, v1
                                        ; implicit-def: $vgpr1
; %bb.110:
	s_andn2_saveexec_b64 s[30:31], s[4:5]
; %bb.111:
	v_mov_b32_e32 v3, 0
	v_or_b32_e32 v85, 0x10000, v1
	v_cmp_eq_u32_sdwa s[4:5], v1, v3 src0_sel:WORD_0 src1_sel:DWORD
	v_cndmask_b32_e64 v1, v85, v1, s[4:5]
	v_accvgpr_write_b32 a35, v1
; %bb.112:
	s_or_b64 exec, exec, s[30:31]
	v_sub_f32_e32 v236, v237, v238
	v_sub_f32_e32 v237, v239, v240
	;; [unrolled: 1-line block ×4, first 2 shown]
	v_add_f32_e32 v85, v236, v237
	v_add_f32_e32 v86, v238, v239
	;; [unrolled: 1-line block ×3, first 2 shown]
	v_mul_f32_e32 v1, s33, v1
	s_mov_b32 s4, 0x7f800000
	v_and_b32_e32 v3, 0x7f800000, v1
	v_cmp_ne_u32_e64 s[4:5], s4, v3
                                        ; implicit-def: $vgpr3
	s_and_saveexec_b64 s[30:31], s[4:5]
	s_xor_b64 s[4:5], exec, s[30:31]
; %bb.113:
	v_bfe_u32 v3, v1, 16, 1
	s_movk_i32 s30, 0x7fff
	v_add3_u32 v3, v1, v3, s30
                                        ; implicit-def: $vgpr1
; %bb.114:
	s_andn2_saveexec_b64 s[30:31], s[4:5]
; %bb.115:
	v_mov_b32_e32 v3, 0
	v_or_b32_e32 v87, 0x10000, v1
	v_cmp_eq_u32_sdwa s[4:5], v1, v3 src0_sel:WORD_0 src1_sel:DWORD
	v_cndmask_b32_e64 v3, v87, v1, s[4:5]
; %bb.116:
	s_or_b64 exec, exec, s[30:31]
	v_sub_f32_e32 v240, v245, v246
	v_sub_f32_e32 v241, v247, v248
	v_sub_f32_e32 v242, v249, v250
	v_sub_f32_e32 v243, v251, v252
	v_add_f32_e32 v87, v240, v241
	v_add_f32_e32 v88, v242, v243
	;; [unrolled: 1-line block ×3, first 2 shown]
	v_mul_f32_e32 v89, s33, v1
	s_mov_b32 s4, 0x7f800000
	v_and_b32_e32 v1, 0x7f800000, v89
	v_cmp_ne_u32_e64 s[4:5], s4, v1
                                        ; implicit-def: $vgpr1
	s_and_saveexec_b64 s[30:31], s[4:5]
	s_xor_b64 s[4:5], exec, s[30:31]
; %bb.117:
	v_bfe_u32 v1, v89, 16, 1
	s_movk_i32 s30, 0x7fff
	v_add3_u32 v1, v89, v1, s30
                                        ; implicit-def: $vgpr89
; %bb.118:
	s_andn2_saveexec_b64 s[30:31], s[4:5]
; %bb.119:
	v_mov_b32_e32 v1, 0
	v_or_b32_e32 v90, 0x10000, v89
	v_cmp_eq_u32_sdwa s[4:5], v89, v1 src0_sel:WORD_0 src1_sel:DWORD
	v_cndmask_b32_e64 v1, v90, v89, s[4:5]
; %bb.120:
	s_or_b64 exec, exec, s[30:31]
	v_sub_f32_e32 v244, v253, v254
	v_sub_f32_e32 v245, v255, v148
	;; [unrolled: 1-line block ×4, first 2 shown]
	v_add_f32_e32 v89, v244, v245
	v_add_f32_e32 v90, v246, v247
	;; [unrolled: 1-line block ×3, first 2 shown]
	v_mul_f32_e32 v92, s33, v92
	s_mov_b32 s4, 0x7f800000
	v_and_b32_e32 v93, 0x7f800000, v92
	v_cmp_ne_u32_e64 s[4:5], s4, v93
                                        ; implicit-def: $vgpr144
	s_and_saveexec_b64 s[30:31], s[4:5]
	s_xor_b64 s[4:5], exec, s[30:31]
; %bb.121:
	v_bfe_u32 v93, v92, 16, 1
	s_movk_i32 s30, 0x7fff
	v_add3_u32 v144, v92, v93, s30
                                        ; implicit-def: $vgpr92
; %bb.122:
	s_andn2_saveexec_b64 s[30:31], s[4:5]
; %bb.123:
	v_mov_b32_e32 v93, 0
	v_or_b32_e32 v94, 0x10000, v92
	v_cmp_eq_u32_sdwa s[4:5], v92, v93 src0_sel:WORD_0 src1_sel:DWORD
	v_cndmask_b32_e64 v144, v94, v92, s[4:5]
; %bb.124:
	s_or_b64 exec, exec, s[30:31]
	v_sub_f32_e32 v248, v161, v162
	v_sub_f32_e32 v249, v163, v164
	;; [unrolled: 1-line block ×4, first 2 shown]
	v_add_f32_e32 v92, v248, v249
	v_add_f32_e32 v93, v250, v251
	;; [unrolled: 1-line block ×3, first 2 shown]
	v_mul_f32_e32 v94, s33, v94
	s_mov_b32 s4, 0x7f800000
	v_and_b32_e32 v95, 0x7f800000, v94
	v_cmp_ne_u32_e64 s[4:5], s4, v95
                                        ; implicit-def: $vgpr146
	s_and_saveexec_b64 s[30:31], s[4:5]
	s_xor_b64 s[4:5], exec, s[30:31]
; %bb.125:
	v_bfe_u32 v95, v94, 16, 1
	s_movk_i32 s30, 0x7fff
	v_add3_u32 v146, v94, v95, s30
                                        ; implicit-def: $vgpr94
; %bb.126:
	s_andn2_saveexec_b64 s[30:31], s[4:5]
; %bb.127:
	v_mov_b32_e32 v95, 0
	v_or_b32_e32 v96, 0x10000, v94
	v_cmp_eq_u32_sdwa s[4:5], v94, v95 src0_sel:WORD_0 src1_sel:DWORD
	v_cndmask_b32_e64 v146, v96, v94, s[4:5]
; %bb.128:
	s_or_b64 exec, exec, s[30:31]
	v_sub_f32_e32 v252, v16, v20
	v_sub_f32_e32 v253, v24, v28
	;; [unrolled: 1-line block ×4, first 2 shown]
	v_add_f32_e32 v94, v252, v253
	v_add_f32_e32 v95, v254, v255
	;; [unrolled: 1-line block ×3, first 2 shown]
	v_mul_f32_e32 v16, s33, v16
	s_mov_b32 s4, 0x7f800000
	v_and_b32_e32 v20, 0x7f800000, v16
	v_cmp_ne_u32_e64 s[4:5], s4, v20
                                        ; implicit-def: $vgpr24
	s_and_saveexec_b64 s[30:31], s[4:5]
	s_xor_b64 s[4:5], exec, s[30:31]
; %bb.129:
	v_bfe_u32 v20, v16, 16, 1
	s_movk_i32 s30, 0x7fff
	v_add3_u32 v24, v16, v20, s30
                                        ; implicit-def: $vgpr16
; %bb.130:
	s_andn2_saveexec_b64 s[30:31], s[4:5]
; %bb.131:
	v_mov_b32_e32 v20, 0
	v_or_b32_e32 v24, 0x10000, v16
	v_cmp_eq_u32_sdwa s[4:5], v16, v20 src0_sel:WORD_0 src1_sel:DWORD
	v_cndmask_b32_e64 v24, v24, v16, s[4:5]
; %bb.132:
	s_or_b64 exec, exec, s[30:31]
	v_sub_f32_e32 v180, v17, v21
	v_sub_f32_e32 v181, v124, v25
	;; [unrolled: 1-line block ×4, first 2 shown]
	v_add_f32_e32 v96, v180, v181
	v_add_f32_e32 v97, v182, v183
	;; [unrolled: 1-line block ×3, first 2 shown]
	v_mul_f32_e32 v16, s33, v16
	s_mov_b32 s4, 0x7f800000
	v_and_b32_e32 v17, 0x7f800000, v16
	v_cmp_ne_u32_e64 s[4:5], s4, v17
                                        ; implicit-def: $vgpr25
	s_and_saveexec_b64 s[30:31], s[4:5]
	s_xor_b64 s[4:5], exec, s[30:31]
; %bb.133:
	v_bfe_u32 v17, v16, 16, 1
	s_movk_i32 s30, 0x7fff
	v_add3_u32 v25, v16, v17, s30
                                        ; implicit-def: $vgpr16
; %bb.134:
	s_andn2_saveexec_b64 s[30:31], s[4:5]
; %bb.135:
	v_mov_b32_e32 v17, 0
	v_or_b32_e32 v20, 0x10000, v16
	v_cmp_eq_u32_sdwa s[4:5], v16, v17 src0_sel:WORD_0 src1_sel:DWORD
	v_cndmask_b32_e64 v25, v20, v16, s[4:5]
; %bb.136:
	s_or_b64 exec, exec, s[30:31]
	v_sub_f32_e32 v184, v18, v22
	v_sub_f32_e32 v185, v125, v26
	;; [unrolled: 1-line block ×4, first 2 shown]
	v_add_f32_e32 v98, v184, v185
	v_add_f32_e32 v99, v186, v187
	;; [unrolled: 1-line block ×3, first 2 shown]
	v_mul_f32_e32 v16, s33, v16
	s_mov_b32 s4, 0x7f800000
	v_and_b32_e32 v17, 0x7f800000, v16
	v_cmp_ne_u32_e64 s[4:5], s4, v17
                                        ; implicit-def: $vgpr26
	s_and_saveexec_b64 s[30:31], s[4:5]
	s_xor_b64 s[4:5], exec, s[30:31]
; %bb.137:
	v_bfe_u32 v17, v16, 16, 1
	s_movk_i32 s30, 0x7fff
	v_add3_u32 v26, v16, v17, s30
                                        ; implicit-def: $vgpr16
; %bb.138:
	s_andn2_saveexec_b64 s[30:31], s[4:5]
; %bb.139:
	v_mov_b32_e32 v17, 0
	v_or_b32_e32 v18, 0x10000, v16
	v_cmp_eq_u32_sdwa s[4:5], v16, v17 src0_sel:WORD_0 src1_sel:DWORD
	v_cndmask_b32_e64 v26, v18, v16, s[4:5]
; %bb.140:
	s_or_b64 exec, exec, s[30:31]
	v_sub_f32_e32 v188, v19, v126
	v_sub_f32_e32 v189, v23, v27
	v_sub_f32_e32 v190, v111, v115
	v_sub_f32_e32 v191, v119, v123
	v_add_f32_e32 v100, v188, v189
	v_add_f32_e32 v101, v190, v191
	v_add_f32_e32 v16, v100, v101
	v_mul_f32_e32 v16, s33, v16
	s_mov_b32 s4, 0x7f800000
	v_and_b32_e32 v17, 0x7f800000, v16
	v_cmp_ne_u32_e64 s[4:5], s4, v17
                                        ; implicit-def: $vgpr27
	s_and_saveexec_b64 s[30:31], s[4:5]
	s_xor_b64 s[4:5], exec, s[30:31]
; %bb.141:
	v_bfe_u32 v17, v16, 16, 1
	s_movk_i32 s30, 0x7fff
	v_add3_u32 v27, v16, v17, s30
                                        ; implicit-def: $vgpr16
; %bb.142:
	s_andn2_saveexec_b64 s[30:31], s[4:5]
; %bb.143:
	v_mov_b32_e32 v17, 0
	v_or_b32_e32 v18, 0x10000, v16
	v_cmp_eq_u32_sdwa s[4:5], v16, v17 src0_sel:WORD_0 src1_sel:DWORD
	v_cndmask_b32_e64 v27, v18, v16, s[4:5]
; %bb.144:
	s_or_b64 exec, exec, s[30:31]
	v_sub_f32_e32 v192, v4, v127
	v_sub_f32_e32 v129, v36, v40
	;; [unrolled: 1-line block ×4, first 2 shown]
	v_add_f32_e32 v102, v192, v129
	v_add_f32_e32 v103, v131, v145
	;; [unrolled: 1-line block ×3, first 2 shown]
	v_mul_f32_e32 v4, s33, v4
	s_mov_b32 s4, 0x7f800000
	v_and_b32_e32 v16, 0x7f800000, v4
	v_cmp_ne_u32_e64 s[4:5], s4, v16
                                        ; implicit-def: $vgpr28
	s_and_saveexec_b64 s[30:31], s[4:5]
	s_xor_b64 s[4:5], exec, s[30:31]
; %bb.145:
	v_bfe_u32 v16, v4, 16, 1
	s_movk_i32 s30, 0x7fff
	v_add3_u32 v28, v4, v16, s30
                                        ; implicit-def: $vgpr4
; %bb.146:
	s_andn2_saveexec_b64 s[30:31], s[4:5]
; %bb.147:
	v_mov_b32_e32 v16, 0
	v_or_b32_e32 v17, 0x10000, v4
	v_cmp_eq_u32_sdwa s[4:5], v4, v16 src0_sel:WORD_0 src1_sel:DWORD
	v_cndmask_b32_e64 v28, v17, v4, s[4:5]
; %bb.148:
	s_or_b64 exec, exec, s[30:31]
	v_sub_f32_e32 v147, v5, v31
	v_sub_f32_e32 v149, v37, v41
	;; [unrolled: 1-line block ×4, first 2 shown]
	v_add_f32_e32 v104, v147, v149
	v_add_f32_e32 v105, v155, v157
	;; [unrolled: 1-line block ×3, first 2 shown]
	v_mul_f32_e32 v4, s33, v4
	s_mov_b32 s4, 0x7f800000
	v_and_b32_e32 v5, 0x7f800000, v4
	v_cmp_ne_u32_e64 s[4:5], s4, v5
                                        ; implicit-def: $vgpr29
	s_and_saveexec_b64 s[30:31], s[4:5]
	s_xor_b64 s[4:5], exec, s[30:31]
; %bb.149:
	v_bfe_u32 v5, v4, 16, 1
	s_movk_i32 s30, 0x7fff
	v_add3_u32 v29, v4, v5, s30
                                        ; implicit-def: $vgpr4
; %bb.150:
	s_andn2_saveexec_b64 s[30:31], s[4:5]
; %bb.151:
	v_mov_b32_e32 v5, 0
	v_or_b32_e32 v16, 0x10000, v4
	v_cmp_eq_u32_sdwa s[4:5], v4, v5 src0_sel:WORD_0 src1_sel:DWORD
	v_cndmask_b32_e64 v29, v16, v4, s[4:5]
; %bb.152:
	s_or_b64 exec, exec, s[30:31]
	v_sub_f32_e32 v159, v6, v169
	v_sub_f32_e32 v16, v38, v42
	;; [unrolled: 1-line block ×4, first 2 shown]
	v_add_f32_e32 v107, v159, v16
	v_add_f32_e32 v108, v17, v18
	;; [unrolled: 1-line block ×3, first 2 shown]
	v_mul_f32_e32 v4, s33, v4
	s_mov_b32 s4, 0x7f800000
	v_and_b32_e32 v5, 0x7f800000, v4
	v_cmp_ne_u32_e64 s[4:5], s4, v5
                                        ; implicit-def: $vgpr36
	s_and_saveexec_b64 s[30:31], s[4:5]
	s_xor_b64 s[4:5], exec, s[30:31]
; %bb.153:
	v_bfe_u32 v5, v4, 16, 1
	s_movk_i32 s30, 0x7fff
	v_add3_u32 v36, v4, v5, s30
                                        ; implicit-def: $vgpr4
; %bb.154:
	s_andn2_saveexec_b64 s[30:31], s[4:5]
; %bb.155:
	v_mov_b32_e32 v5, 0
	v_or_b32_e32 v6, 0x10000, v4
	v_cmp_eq_u32_sdwa s[4:5], v4, v5 src0_sel:WORD_0 src1_sel:DWORD
	v_cndmask_b32_e64 v36, v6, v4, s[4:5]
; %bb.156:
	s_or_b64 exec, exec, s[30:31]
	v_sub_f32_e32 v19, v7, v172
	v_sub_f32_e32 v20, v39, v43
	;; [unrolled: 1-line block ×4, first 2 shown]
	v_add_f32_e32 v109, v19, v20
	v_add_f32_e32 v110, v21, v22
	;; [unrolled: 1-line block ×3, first 2 shown]
	v_mul_f32_e32 v4, s33, v4
	s_mov_b32 s4, 0x7f800000
	v_and_b32_e32 v5, 0x7f800000, v4
	v_cmp_ne_u32_e64 s[4:5], s4, v5
                                        ; implicit-def: $vgpr37
	s_and_saveexec_b64 s[30:31], s[4:5]
	s_xor_b64 s[4:5], exec, s[30:31]
; %bb.157:
	v_bfe_u32 v5, v4, 16, 1
	s_movk_i32 s30, 0x7fff
	v_add3_u32 v37, v4, v5, s30
                                        ; implicit-def: $vgpr4
; %bb.158:
	s_andn2_saveexec_b64 s[30:31], s[4:5]
; %bb.159:
	v_mov_b32_e32 v5, 0
	v_or_b32_e32 v6, 0x10000, v4
	v_cmp_eq_u32_sdwa s[4:5], v4, v5 src0_sel:WORD_0 src1_sel:DWORD
	v_cndmask_b32_e64 v37, v6, v4, s[4:5]
; %bb.160:
	s_or_b64 exec, exec, s[30:31]
	v_pk_add_f32 v[4:5], v[132:133], v[134:135] neg_lo:[0,1] neg_hi:[0,1]
	v_pk_add_f32 v[6:7], v[136:137], v[138:139] neg_lo:[0,1] neg_hi:[0,1]
	v_add_f32_e32 v5, v4, v6
	v_mul_f32_e32 v7, s33, v5
	s_mov_b32 s4, 0x7f800000
	v_and_b32_e32 v5, 0x7f800000, v7
	v_cmp_ne_u32_e64 s[4:5], s4, v5
                                        ; implicit-def: $vgpr5
	s_and_saveexec_b64 s[30:31], s[4:5]
	s_xor_b64 s[4:5], exec, s[30:31]
; %bb.161:
	v_bfe_u32 v5, v7, 16, 1
	s_movk_i32 s30, 0x7fff
	v_add3_u32 v5, v7, v5, s30
                                        ; implicit-def: $vgpr7
; %bb.162:
	s_andn2_saveexec_b64 s[30:31], s[4:5]
; %bb.163:
	v_mov_b32_e32 v5, 0
	v_or_b32_e32 v23, 0x10000, v7
	v_cmp_eq_u32_sdwa s[4:5], v7, v5 src0_sel:WORD_0 src1_sel:DWORD
	v_cndmask_b32_e64 v5, v23, v7, s[4:5]
; %bb.164:
	s_or_b64 exec, exec, s[30:31]
	v_sub_f32_e32 v111, v175, v176
	v_sub_f32_e32 v112, v177, v178
	v_add_f32_e32 v7, v111, v112
	v_mul_f32_e32 v23, s33, v7
	s_mov_b32 s4, 0x7f800000
	v_and_b32_e32 v7, 0x7f800000, v23
	v_cmp_ne_u32_e64 s[4:5], s4, v7
                                        ; implicit-def: $vgpr7
	s_and_saveexec_b64 s[30:31], s[4:5]
	s_xor_b64 s[4:5], exec, s[30:31]
; %bb.165:
	v_bfe_u32 v7, v23, 16, 1
	s_movk_i32 s30, 0x7fff
	v_add3_u32 v7, v23, v7, s30
                                        ; implicit-def: $vgpr23
; %bb.166:
	s_andn2_saveexec_b64 s[30:31], s[4:5]
; %bb.167:
	v_mov_b32_e32 v7, 0
	v_or_b32_e32 v30, 0x10000, v23
	v_cmp_eq_u32_sdwa s[4:5], v23, v7 src0_sel:WORD_0 src1_sel:DWORD
	v_cndmask_b32_e64 v7, v30, v23, s[4:5]
; %bb.168:
	s_or_b64 exec, exec, s[30:31]
	v_sub_f32_e32 v113, v179, v193
	v_sub_f32_e32 v114, v194, v195
	v_add_f32_e32 v23, v113, v114
	v_mul_f32_e32 v23, s33, v23
	s_mov_b32 s4, 0x7f800000
	v_and_b32_e32 v30, 0x7f800000, v23
	v_cmp_ne_u32_e64 s[4:5], s4, v30
                                        ; implicit-def: $vgpr38
	s_and_saveexec_b64 s[30:31], s[4:5]
	s_xor_b64 s[4:5], exec, s[30:31]
; %bb.169:
	v_bfe_u32 v30, v23, 16, 1
	s_movk_i32 s30, 0x7fff
	v_add3_u32 v38, v23, v30, s30
                                        ; implicit-def: $vgpr23
; %bb.170:
	s_andn2_saveexec_b64 s[30:31], s[4:5]
; %bb.171:
	v_mov_b32_e32 v30, 0
	v_or_b32_e32 v31, 0x10000, v23
	v_cmp_eq_u32_sdwa s[4:5], v23, v30 src0_sel:WORD_0 src1_sel:DWORD
	v_cndmask_b32_e64 v38, v31, v23, s[4:5]
; %bb.172:
	s_or_b64 exec, exec, s[30:31]
	v_sub_f32_e32 v115, v196, v197
	v_sub_f32_e32 v116, v198, v199
	v_add_f32_e32 v23, v115, v116
	v_mul_f32_e32 v23, s33, v23
	s_mov_b32 s4, 0x7f800000
	v_and_b32_e32 v30, 0x7f800000, v23
	v_cmp_ne_u32_e64 s[4:5], s4, v30
                                        ; implicit-def: $vgpr39
	s_and_saveexec_b64 s[30:31], s[4:5]
	s_xor_b64 s[4:5], exec, s[30:31]
; %bb.173:
	v_bfe_u32 v30, v23, 16, 1
	s_movk_i32 s30, 0x7fff
	v_add3_u32 v39, v23, v30, s30
                                        ; implicit-def: $vgpr23
; %bb.174:
	s_andn2_saveexec_b64 s[30:31], s[4:5]
; %bb.175:
	v_mov_b32_e32 v30, 0
	v_or_b32_e32 v31, 0x10000, v23
	v_cmp_eq_u32_sdwa s[4:5], v23, v30 src0_sel:WORD_0 src1_sel:DWORD
	v_cndmask_b32_e64 v39, v31, v23, s[4:5]
; %bb.176:
	s_or_b64 exec, exec, s[30:31]
	v_sub_f32_e32 v117, v200, v201
	v_sub_f32_e32 v118, v202, v203
	v_add_f32_e32 v23, v117, v118
	v_mul_f32_e32 v23, s33, v23
	s_mov_b32 s4, 0x7f800000
	v_and_b32_e32 v30, 0x7f800000, v23
	v_cmp_ne_u32_e64 s[4:5], s4, v30
                                        ; implicit-def: $vgpr40
	s_and_saveexec_b64 s[30:31], s[4:5]
	s_xor_b64 s[4:5], exec, s[30:31]
; %bb.177:
	v_bfe_u32 v30, v23, 16, 1
	s_movk_i32 s30, 0x7fff
	v_add3_u32 v40, v23, v30, s30
                                        ; implicit-def: $vgpr23
; %bb.178:
	s_andn2_saveexec_b64 s[30:31], s[4:5]
; %bb.179:
	v_mov_b32_e32 v30, 0
	v_or_b32_e32 v31, 0x10000, v23
	v_cmp_eq_u32_sdwa s[4:5], v23, v30 src0_sel:WORD_0 src1_sel:DWORD
	v_cndmask_b32_e64 v40, v31, v23, s[4:5]
; %bb.180:
	s_or_b64 exec, exec, s[30:31]
	v_sub_f32_e32 v119, v204, v205
	v_sub_f32_e32 v120, v206, v207
	v_add_f32_e32 v23, v119, v120
	v_mul_f32_e32 v23, s33, v23
	s_mov_b32 s4, 0x7f800000
	v_and_b32_e32 v30, 0x7f800000, v23
	v_cmp_ne_u32_e64 s[4:5], s4, v30
                                        ; implicit-def: $vgpr41
	s_and_saveexec_b64 s[30:31], s[4:5]
	s_xor_b64 s[4:5], exec, s[30:31]
; %bb.181:
	v_bfe_u32 v30, v23, 16, 1
	s_movk_i32 s30, 0x7fff
	v_add3_u32 v41, v23, v30, s30
                                        ; implicit-def: $vgpr23
; %bb.182:
	s_andn2_saveexec_b64 s[30:31], s[4:5]
; %bb.183:
	v_mov_b32_e32 v30, 0
	v_or_b32_e32 v31, 0x10000, v23
	v_cmp_eq_u32_sdwa s[4:5], v23, v30 src0_sel:WORD_0 src1_sel:DWORD
	v_cndmask_b32_e64 v41, v31, v23, s[4:5]
; %bb.184:
	s_or_b64 exec, exec, s[30:31]
	v_sub_f32_e32 v121, v208, v209
	v_sub_f32_e32 v122, v210, v211
	v_add_f32_e32 v23, v121, v122
	v_mul_f32_e32 v23, s33, v23
	s_mov_b32 s4, 0x7f800000
	v_and_b32_e32 v30, 0x7f800000, v23
	v_cmp_ne_u32_e64 s[4:5], s4, v30
                                        ; implicit-def: $vgpr42
	s_and_saveexec_b64 s[30:31], s[4:5]
	s_xor_b64 s[4:5], exec, s[30:31]
; %bb.185:
	v_bfe_u32 v30, v23, 16, 1
	s_movk_i32 s30, 0x7fff
	v_add3_u32 v42, v23, v30, s30
                                        ; implicit-def: $vgpr23
; %bb.186:
	s_andn2_saveexec_b64 s[30:31], s[4:5]
; %bb.187:
	v_mov_b32_e32 v30, 0
	v_or_b32_e32 v31, 0x10000, v23
	v_cmp_eq_u32_sdwa s[4:5], v23, v30 src0_sel:WORD_0 src1_sel:DWORD
	v_cndmask_b32_e64 v42, v31, v23, s[4:5]
; %bb.188:
	s_or_b64 exec, exec, s[30:31]
	v_sub_f32_e32 v123, v212, v213
	v_sub_f32_e32 v124, v214, v215
	v_add_f32_e32 v23, v123, v124
	v_mul_f32_e32 v23, s33, v23
	s_mov_b32 s4, 0x7f800000
	v_and_b32_e32 v30, 0x7f800000, v23
	v_cmp_ne_u32_e64 s[4:5], s4, v30
                                        ; implicit-def: $vgpr43
	s_and_saveexec_b64 s[30:31], s[4:5]
	s_xor_b64 s[4:5], exec, s[30:31]
; %bb.189:
	v_bfe_u32 v30, v23, 16, 1
	s_movk_i32 s30, 0x7fff
	v_add3_u32 v43, v23, v30, s30
                                        ; implicit-def: $vgpr23
; %bb.190:
	s_andn2_saveexec_b64 s[30:31], s[4:5]
; %bb.191:
	v_mov_b32_e32 v30, 0
	v_or_b32_e32 v31, 0x10000, v23
	v_cmp_eq_u32_sdwa s[4:5], v23, v30 src0_sel:WORD_0 src1_sel:DWORD
	v_cndmask_b32_e64 v43, v31, v23, s[4:5]
; %bb.192:
	s_or_b64 exec, exec, s[30:31]
	v_sub_f32_e32 v125, v216, v217
	v_sub_f32_e32 v126, v218, v219
	v_add_f32_e32 v23, v125, v126
	v_mul_f32_e32 v23, s33, v23
	s_mov_b32 s4, 0x7f800000
	v_and_b32_e32 v30, 0x7f800000, v23
	v_cmp_ne_u32_e64 s[4:5], s4, v30
                                        ; implicit-def: $vgpr44
	s_and_saveexec_b64 s[30:31], s[4:5]
	s_xor_b64 s[4:5], exec, s[30:31]
; %bb.193:
	v_bfe_u32 v30, v23, 16, 1
	s_movk_i32 s30, 0x7fff
	v_add3_u32 v44, v23, v30, s30
                                        ; implicit-def: $vgpr23
; %bb.194:
	s_andn2_saveexec_b64 s[30:31], s[4:5]
; %bb.195:
	v_mov_b32_e32 v30, 0
	v_or_b32_e32 v31, 0x10000, v23
	v_cmp_eq_u32_sdwa s[4:5], v23, v30 src0_sel:WORD_0 src1_sel:DWORD
	v_cndmask_b32_e64 v44, v31, v23, s[4:5]
; %bb.196:
	s_or_b64 exec, exec, s[30:31]
	v_sub_f32_e32 v127, v220, v221
	v_sub_f32_e32 v132, v222, v223
	v_add_f32_e32 v23, v127, v132
	v_mul_f32_e32 v23, s33, v23
	s_mov_b32 s4, 0x7f800000
	v_and_b32_e32 v30, 0x7f800000, v23
	v_cmp_ne_u32_e64 s[4:5], s4, v30
                                        ; implicit-def: $vgpr45
	s_and_saveexec_b64 s[30:31], s[4:5]
	s_xor_b64 s[4:5], exec, s[30:31]
; %bb.197:
	v_bfe_u32 v30, v23, 16, 1
	s_movk_i32 s30, 0x7fff
	v_add3_u32 v45, v23, v30, s30
                                        ; implicit-def: $vgpr23
; %bb.198:
	s_andn2_saveexec_b64 s[30:31], s[4:5]
; %bb.199:
	v_mov_b32_e32 v30, 0
	v_or_b32_e32 v31, 0x10000, v23
	v_cmp_eq_u32_sdwa s[4:5], v23, v30 src0_sel:WORD_0 src1_sel:DWORD
	v_cndmask_b32_e64 v45, v31, v23, s[4:5]
; %bb.200:
	s_or_b64 exec, exec, s[30:31]
	v_sub_f32_e32 v133, v78, v224
	v_sub_f32_e32 v134, v225, v226
	v_add_f32_e32 v23, v133, v134
	v_mul_f32_e32 v23, s33, v23
	s_mov_b32 s4, 0x7f800000
	v_and_b32_e32 v30, 0x7f800000, v23
	v_cmp_ne_u32_e64 s[4:5], s4, v30
                                        ; implicit-def: $vgpr46
	s_and_saveexec_b64 s[30:31], s[4:5]
	s_xor_b64 s[4:5], exec, s[30:31]
; %bb.201:
	v_bfe_u32 v30, v23, 16, 1
	s_movk_i32 s30, 0x7fff
	v_add3_u32 v46, v23, v30, s30
                                        ; implicit-def: $vgpr23
; %bb.202:
	s_andn2_saveexec_b64 s[30:31], s[4:5]
; %bb.203:
	v_mov_b32_e32 v30, 0
	v_or_b32_e32 v31, 0x10000, v23
	v_cmp_eq_u32_sdwa s[4:5], v23, v30 src0_sel:WORD_0 src1_sel:DWORD
	v_cndmask_b32_e64 v46, v31, v23, s[4:5]
; %bb.204:
	s_or_b64 exec, exec, s[30:31]
	v_sub_f32_e32 v135, v91, v227
	v_sub_f32_e32 v136, v228, v229
	v_add_f32_e32 v23, v135, v136
	v_mul_f32_e32 v23, s33, v23
	s_mov_b32 s4, 0x7f800000
	v_and_b32_e32 v30, 0x7f800000, v23
	v_cmp_ne_u32_e64 s[4:5], s4, v30
                                        ; implicit-def: $vgpr47
	s_and_saveexec_b64 s[30:31], s[4:5]
	s_xor_b64 s[4:5], exec, s[30:31]
; %bb.205:
	v_bfe_u32 v30, v23, 16, 1
	s_movk_i32 s30, 0x7fff
	v_add3_u32 v47, v23, v30, s30
                                        ; implicit-def: $vgpr23
; %bb.206:
	s_andn2_saveexec_b64 s[30:31], s[4:5]
; %bb.207:
	v_mov_b32_e32 v30, 0
	v_or_b32_e32 v31, 0x10000, v23
	v_cmp_eq_u32_sdwa s[4:5], v23, v30 src0_sel:WORD_0 src1_sel:DWORD
	v_cndmask_b32_e64 v47, v31, v23, s[4:5]
; %bb.208:
	s_or_b64 exec, exec, s[30:31]
	v_sub_f32_e32 v137, v48, v52
	v_sub_f32_e32 v138, v56, v60
	v_add_f32_e32 v23, v137, v138
	v_mul_f32_e32 v23, s33, v23
	s_mov_b32 s4, 0x7f800000
	v_and_b32_e32 v30, 0x7f800000, v23
	v_cmp_ne_u32_e64 s[4:5], s4, v30
                                        ; implicit-def: $vgpr48
	s_and_saveexec_b64 s[30:31], s[4:5]
	s_xor_b64 s[4:5], exec, s[30:31]
; %bb.209:
	v_bfe_u32 v30, v23, 16, 1
	s_movk_i32 s30, 0x7fff
	v_add3_u32 v48, v23, v30, s30
                                        ; implicit-def: $vgpr23
; %bb.210:
	s_andn2_saveexec_b64 s[30:31], s[4:5]
; %bb.211:
	v_mov_b32_e32 v30, 0
	v_or_b32_e32 v31, 0x10000, v23
	v_cmp_eq_u32_sdwa s[4:5], v23, v30 src0_sel:WORD_0 src1_sel:DWORD
	v_cndmask_b32_e64 v48, v31, v23, s[4:5]
; %bb.212:
	s_or_b64 exec, exec, s[30:31]
	v_sub_f32_e32 v139, v49, v53
	v_sub_f32_e32 v140, v57, v230
	v_add_f32_e32 v23, v139, v140
	v_mul_f32_e32 v23, s33, v23
	s_mov_b32 s4, 0x7f800000
	v_and_b32_e32 v30, 0x7f800000, v23
	v_cmp_ne_u32_e64 s[4:5], s4, v30
                                        ; implicit-def: $vgpr49
	s_and_saveexec_b64 s[30:31], s[4:5]
	s_xor_b64 s[4:5], exec, s[30:31]
; %bb.213:
	v_bfe_u32 v30, v23, 16, 1
	s_movk_i32 s30, 0x7fff
	v_add3_u32 v49, v23, v30, s30
                                        ; implicit-def: $vgpr23
; %bb.214:
	s_andn2_saveexec_b64 s[30:31], s[4:5]
; %bb.215:
	v_mov_b32_e32 v30, 0
	v_or_b32_e32 v31, 0x10000, v23
	v_cmp_eq_u32_sdwa s[4:5], v23, v30 src0_sel:WORD_0 src1_sel:DWORD
	v_cndmask_b32_e64 v49, v31, v23, s[4:5]
; %bb.216:
	s_or_b64 exec, exec, s[30:31]
	v_sub_f32_e32 v141, v50, v54
	v_sub_f32_e32 v142, v58, v106
	v_add_f32_e32 v23, v141, v142
	v_mul_f32_e32 v23, s33, v23
	s_mov_b32 s4, 0x7f800000
	v_and_b32_e32 v30, 0x7f800000, v23
	v_cmp_ne_u32_e64 s[4:5], s4, v30
                                        ; implicit-def: $vgpr50
	s_and_saveexec_b64 s[30:31], s[4:5]
	s_xor_b64 s[4:5], exec, s[30:31]
; %bb.217:
	v_bfe_u32 v30, v23, 16, 1
	s_movk_i32 s30, 0x7fff
	v_add3_u32 v50, v23, v30, s30
                                        ; implicit-def: $vgpr23
; %bb.218:
	s_andn2_saveexec_b64 s[30:31], s[4:5]
; %bb.219:
	v_mov_b32_e32 v30, 0
	v_or_b32_e32 v31, 0x10000, v23
	v_cmp_eq_u32_sdwa s[4:5], v23, v30 src0_sel:WORD_0 src1_sel:DWORD
	v_cndmask_b32_e64 v50, v31, v23, s[4:5]
; %bb.220:
	s_or_b64 exec, exec, s[30:31]
	v_sub_f32_e32 v143, v51, v55
	v_sub_f32_e32 v150, v59, v63
	v_add_f32_e32 v23, v143, v150
	v_mul_f32_e32 v23, s33, v23
	s_mov_b32 s4, 0x7f800000
	v_and_b32_e32 v30, 0x7f800000, v23
	v_cmp_ne_u32_e64 s[4:5], s4, v30
                                        ; implicit-def: $vgpr51
	s_and_saveexec_b64 s[30:31], s[4:5]
	s_xor_b64 s[4:5], exec, s[30:31]
; %bb.221:
	v_bfe_u32 v30, v23, 16, 1
	s_movk_i32 s30, 0x7fff
	v_add3_u32 v51, v23, v30, s30
                                        ; implicit-def: $vgpr23
; %bb.222:
	s_andn2_saveexec_b64 s[30:31], s[4:5]
; %bb.223:
	v_mov_b32_e32 v30, 0
	v_or_b32_e32 v31, 0x10000, v23
	v_cmp_eq_u32_sdwa s[4:5], v23, v30 src0_sel:WORD_0 src1_sel:DWORD
	v_cndmask_b32_e64 v51, v31, v23, s[4:5]
; %bb.224:
	s_or_b64 exec, exec, s[30:31]
	v_pk_add_f32 v[8:9], v[8:9], v[10:11] neg_lo:[0,1] neg_hi:[0,1]
	v_pk_add_f32 v[10:11], v[12:13], v[14:15] neg_lo:[0,1] neg_hi:[0,1]
	v_add_f32_e32 v9, v8, v10
	v_mul_f32_e32 v11, s33, v9
	s_mov_b32 s4, 0x7f800000
	v_and_b32_e32 v9, 0x7f800000, v11
	v_cmp_ne_u32_e64 s[4:5], s4, v9
                                        ; implicit-def: $vgpr9
	s_and_saveexec_b64 s[30:31], s[4:5]
	s_xor_b64 s[4:5], exec, s[30:31]
; %bb.225:
	v_bfe_u32 v9, v11, 16, 1
	s_movk_i32 s30, 0x7fff
	v_add3_u32 v9, v11, v9, s30
                                        ; implicit-def: $vgpr11
; %bb.226:
	s_andn2_saveexec_b64 s[30:31], s[4:5]
; %bb.227:
	v_mov_b32_e32 v9, 0
	v_or_b32_e32 v12, 0x10000, v11
	v_cmp_eq_u32_sdwa s[4:5], v11, v9 src0_sel:WORD_0 src1_sel:DWORD
	v_cndmask_b32_e64 v9, v12, v11, s[4:5]
; %bb.228:
	s_or_b64 exec, exec, s[30:31]
	v_sub_f32_e32 v151, v151, v152
	v_sub_f32_e32 v152, v153, v154
	v_add_f32_e32 v11, v151, v152
	v_mul_f32_e32 v12, s33, v11
	s_mov_b32 s4, 0x7f800000
	v_and_b32_e32 v11, 0x7f800000, v12
	v_cmp_ne_u32_e64 s[4:5], s4, v11
                                        ; implicit-def: $vgpr11
	s_and_saveexec_b64 s[30:31], s[4:5]
	s_xor_b64 s[4:5], exec, s[30:31]
; %bb.229:
	v_bfe_u32 v11, v12, 16, 1
	s_movk_i32 s30, 0x7fff
	v_add3_u32 v11, v12, v11, s30
                                        ; implicit-def: $vgpr12
; %bb.230:
	s_andn2_saveexec_b64 s[30:31], s[4:5]
; %bb.231:
	v_mov_b32_e32 v11, 0
	v_or_b32_e32 v13, 0x10000, v12
	v_cmp_eq_u32_sdwa s[4:5], v12, v11 src0_sel:WORD_0 src1_sel:DWORD
	v_cndmask_b32_e64 v11, v13, v12, s[4:5]
; %bb.232:
	s_or_b64 exec, exec, s[30:31]
	v_sub_f32_e32 v153, v156, v158
	v_sub_f32_e32 v154, v160, v231
	v_add_f32_e32 v12, v153, v154
	v_mul_f32_e32 v13, s33, v12
	s_mov_b32 s4, 0x7f800000
	v_and_b32_e32 v12, 0x7f800000, v13
	v_cmp_ne_u32_e64 s[4:5], s4, v12
                                        ; implicit-def: $vgpr12
	s_and_saveexec_b64 s[30:31], s[4:5]
	s_xor_b64 s[4:5], exec, s[30:31]
; %bb.233:
	v_bfe_u32 v12, v13, 16, 1
	s_movk_i32 s30, 0x7fff
	v_add3_u32 v12, v13, v12, s30
                                        ; implicit-def: $vgpr13
; %bb.234:
	s_andn2_saveexec_b64 s[30:31], s[4:5]
; %bb.235:
	v_mov_b32_e32 v12, 0
	v_or_b32_e32 v14, 0x10000, v13
	v_cmp_eq_u32_sdwa s[4:5], v13, v12 src0_sel:WORD_0 src1_sel:DWORD
	v_cndmask_b32_e64 v12, v14, v13, s[4:5]
; %bb.236:
	s_or_b64 exec, exec, s[30:31]
	v_sub_f32_e32 v156, v232, v233
	v_sub_f32_e32 v158, v234, v235
	v_add_f32_e32 v13, v156, v158
	v_mul_f32_e32 v14, s33, v13
	s_mov_b32 s4, 0x7f800000
	v_and_b32_e32 v13, 0x7f800000, v14
	v_cmp_ne_u32_e64 s[4:5], s4, v13
                                        ; implicit-def: $vgpr13
	s_and_saveexec_b64 s[30:31], s[4:5]
	s_xor_b64 s[4:5], exec, s[30:31]
; %bb.237:
	v_bfe_u32 v13, v14, 16, 1
	s_movk_i32 s30, 0x7fff
	v_add3_u32 v13, v14, v13, s30
                                        ; implicit-def: $vgpr14
; %bb.238:
	s_andn2_saveexec_b64 s[30:31], s[4:5]
; %bb.239:
	v_mov_b32_e32 v13, 0
	v_or_b32_e32 v15, 0x10000, v14
	v_cmp_eq_u32_sdwa s[4:5], v14, v13 src0_sel:WORD_0 src1_sel:DWORD
	v_cndmask_b32_e64 v13, v15, v14, s[4:5]
; %bb.240:
	s_or_b64 exec, exec, s[30:31]
	v_sub_f32_e32 v160, v236, v237
	v_sub_f32_e32 v175, v238, v239
	v_add_f32_e32 v14, v160, v175
	v_mul_f32_e32 v15, s33, v14
	s_mov_b32 s4, 0x7f800000
	v_and_b32_e32 v14, 0x7f800000, v15
	v_cmp_ne_u32_e64 s[4:5], s4, v14
                                        ; implicit-def: $vgpr14
	s_and_saveexec_b64 s[30:31], s[4:5]
	s_xor_b64 s[4:5], exec, s[30:31]
; %bb.241:
	v_bfe_u32 v14, v15, 16, 1
	s_movk_i32 s30, 0x7fff
	v_add3_u32 v14, v15, v14, s30
                                        ; implicit-def: $vgpr15
; %bb.242:
	s_andn2_saveexec_b64 s[30:31], s[4:5]
; %bb.243:
	v_mov_b32_e32 v14, 0
	v_or_b32_e32 v23, 0x10000, v15
	v_cmp_eq_u32_sdwa s[4:5], v15, v14 src0_sel:WORD_0 src1_sel:DWORD
	v_cndmask_b32_e64 v14, v23, v15, s[4:5]
; %bb.244:
	s_or_b64 exec, exec, s[30:31]
	v_sub_f32_e32 v176, v240, v241
	v_sub_f32_e32 v177, v242, v243
	v_add_f32_e32 v15, v176, v177
	v_mul_f32_e32 v23, s33, v15
	s_mov_b32 s4, 0x7f800000
	v_and_b32_e32 v15, 0x7f800000, v23
	v_cmp_ne_u32_e64 s[4:5], s4, v15
                                        ; implicit-def: $vgpr15
	s_and_saveexec_b64 s[30:31], s[4:5]
	s_xor_b64 s[4:5], exec, s[30:31]
; %bb.245:
	v_bfe_u32 v15, v23, 16, 1
	s_movk_i32 s30, 0x7fff
	v_add3_u32 v15, v23, v15, s30
                                        ; implicit-def: $vgpr23
; %bb.246:
	s_andn2_saveexec_b64 s[30:31], s[4:5]
; %bb.247:
	v_mov_b32_e32 v15, 0
	v_or_b32_e32 v30, 0x10000, v23
	v_cmp_eq_u32_sdwa s[4:5], v23, v15 src0_sel:WORD_0 src1_sel:DWORD
	v_cndmask_b32_e64 v15, v30, v23, s[4:5]
; %bb.248:
	s_or_b64 exec, exec, s[30:31]
	v_sub_f32_e32 v178, v244, v245
	v_sub_f32_e32 v179, v246, v247
	v_add_f32_e32 v23, v178, v179
	v_mul_f32_e32 v23, s33, v23
	s_mov_b32 s4, 0x7f800000
	v_and_b32_e32 v30, 0x7f800000, v23
	v_cmp_ne_u32_e64 s[4:5], s4, v30
                                        ; implicit-def: $vgpr52
	s_and_saveexec_b64 s[30:31], s[4:5]
	s_xor_b64 s[4:5], exec, s[30:31]
; %bb.249:
	v_bfe_u32 v30, v23, 16, 1
	s_movk_i32 s30, 0x7fff
	v_add3_u32 v52, v23, v30, s30
                                        ; implicit-def: $vgpr23
; %bb.250:
	s_andn2_saveexec_b64 s[30:31], s[4:5]
; %bb.251:
	v_mov_b32_e32 v30, 0
	v_or_b32_e32 v31, 0x10000, v23
	v_cmp_eq_u32_sdwa s[4:5], v23, v30 src0_sel:WORD_0 src1_sel:DWORD
	v_cndmask_b32_e64 v52, v31, v23, s[4:5]
; %bb.252:
	s_or_b64 exec, exec, s[30:31]
	v_sub_f32_e32 v193, v248, v249
	v_sub_f32_e32 v194, v250, v251
	v_add_f32_e32 v23, v193, v194
	v_mul_f32_e32 v23, s33, v23
	s_mov_b32 s4, 0x7f800000
	v_and_b32_e32 v30, 0x7f800000, v23
	v_cmp_ne_u32_e64 s[4:5], s4, v30
                                        ; implicit-def: $vgpr53
	s_and_saveexec_b64 s[30:31], s[4:5]
	s_xor_b64 s[4:5], exec, s[30:31]
; %bb.253:
	v_bfe_u32 v30, v23, 16, 1
	s_movk_i32 s30, 0x7fff
	v_add3_u32 v53, v23, v30, s30
                                        ; implicit-def: $vgpr23
; %bb.254:
	s_andn2_saveexec_b64 s[30:31], s[4:5]
; %bb.255:
	v_mov_b32_e32 v30, 0
	v_or_b32_e32 v31, 0x10000, v23
	v_cmp_eq_u32_sdwa s[4:5], v23, v30 src0_sel:WORD_0 src1_sel:DWORD
	v_cndmask_b32_e64 v53, v31, v23, s[4:5]
; %bb.256:
	s_or_b64 exec, exec, s[30:31]
	v_sub_f32_e32 v195, v252, v253
	v_sub_f32_e32 v196, v254, v255
	v_add_f32_e32 v23, v195, v196
	v_mul_f32_e32 v23, s33, v23
	s_mov_b32 s4, 0x7f800000
	v_and_b32_e32 v30, 0x7f800000, v23
	v_cmp_ne_u32_e64 s[4:5], s4, v30
                                        ; implicit-def: $vgpr54
	s_and_saveexec_b64 s[30:31], s[4:5]
	s_xor_b64 s[4:5], exec, s[30:31]
; %bb.257:
	v_bfe_u32 v30, v23, 16, 1
	s_movk_i32 s30, 0x7fff
	v_add3_u32 v54, v23, v30, s30
                                        ; implicit-def: $vgpr23
; %bb.258:
	s_andn2_saveexec_b64 s[30:31], s[4:5]
; %bb.259:
	v_mov_b32_e32 v30, 0
	v_or_b32_e32 v31, 0x10000, v23
	v_cmp_eq_u32_sdwa s[4:5], v23, v30 src0_sel:WORD_0 src1_sel:DWORD
	v_cndmask_b32_e64 v54, v31, v23, s[4:5]
; %bb.260:
	s_or_b64 exec, exec, s[30:31]
	v_sub_f32_e32 v197, v180, v181
	v_sub_f32_e32 v198, v182, v183
	v_add_f32_e32 v23, v197, v198
	v_mul_f32_e32 v23, s33, v23
	s_mov_b32 s4, 0x7f800000
	v_and_b32_e32 v30, 0x7f800000, v23
	v_cmp_ne_u32_e64 s[4:5], s4, v30
                                        ; implicit-def: $vgpr55
	s_and_saveexec_b64 s[30:31], s[4:5]
	s_xor_b64 s[4:5], exec, s[30:31]
; %bb.261:
	v_bfe_u32 v30, v23, 16, 1
	s_movk_i32 s30, 0x7fff
	v_add3_u32 v55, v23, v30, s30
                                        ; implicit-def: $vgpr23
; %bb.262:
	s_andn2_saveexec_b64 s[30:31], s[4:5]
; %bb.263:
	v_mov_b32_e32 v30, 0
	v_or_b32_e32 v31, 0x10000, v23
	v_cmp_eq_u32_sdwa s[4:5], v23, v30 src0_sel:WORD_0 src1_sel:DWORD
	v_cndmask_b32_e64 v55, v31, v23, s[4:5]
; %bb.264:
	s_or_b64 exec, exec, s[30:31]
	v_sub_f32_e32 v199, v184, v185
	v_sub_f32_e32 v200, v186, v187
	v_add_f32_e32 v23, v199, v200
	v_mul_f32_e32 v23, s33, v23
	s_mov_b32 s4, 0x7f800000
	v_and_b32_e32 v30, 0x7f800000, v23
	v_cmp_ne_u32_e64 s[4:5], s4, v30
                                        ; implicit-def: $vgpr56
	s_and_saveexec_b64 s[30:31], s[4:5]
	s_xor_b64 s[4:5], exec, s[30:31]
; %bb.265:
	v_bfe_u32 v30, v23, 16, 1
	s_movk_i32 s30, 0x7fff
	v_add3_u32 v56, v23, v30, s30
                                        ; implicit-def: $vgpr23
; %bb.266:
	s_andn2_saveexec_b64 s[30:31], s[4:5]
; %bb.267:
	v_mov_b32_e32 v30, 0
	v_or_b32_e32 v31, 0x10000, v23
	v_cmp_eq_u32_sdwa s[4:5], v23, v30 src0_sel:WORD_0 src1_sel:DWORD
	v_cndmask_b32_e64 v56, v31, v23, s[4:5]
; %bb.268:
	s_or_b64 exec, exec, s[30:31]
	v_sub_f32_e32 v201, v188, v189
	v_sub_f32_e32 v202, v190, v191
	v_add_f32_e32 v23, v201, v202
	v_mul_f32_e32 v23, s33, v23
	s_mov_b32 s4, 0x7f800000
	v_and_b32_e32 v30, 0x7f800000, v23
	v_cmp_ne_u32_e64 s[4:5], s4, v30
                                        ; implicit-def: $vgpr57
	s_and_saveexec_b64 s[30:31], s[4:5]
	s_xor_b64 s[4:5], exec, s[30:31]
; %bb.269:
	v_bfe_u32 v30, v23, 16, 1
	s_movk_i32 s30, 0x7fff
	v_add3_u32 v57, v23, v30, s30
                                        ; implicit-def: $vgpr23
; %bb.270:
	s_andn2_saveexec_b64 s[30:31], s[4:5]
; %bb.271:
	v_mov_b32_e32 v30, 0
	v_or_b32_e32 v31, 0x10000, v23
	v_cmp_eq_u32_sdwa s[4:5], v23, v30 src0_sel:WORD_0 src1_sel:DWORD
	v_cndmask_b32_e64 v57, v31, v23, s[4:5]
; %bb.272:
	s_or_b64 exec, exec, s[30:31]
	v_sub_f32_e32 v203, v192, v129
	v_sub_f32_e32 v204, v131, v145
	v_add_f32_e32 v23, v203, v204
	v_mul_f32_e32 v23, s33, v23
	s_mov_b32 s4, 0x7f800000
	v_and_b32_e32 v30, 0x7f800000, v23
	v_cmp_ne_u32_e64 s[4:5], s4, v30
                                        ; implicit-def: $vgpr58
	s_and_saveexec_b64 s[30:31], s[4:5]
	s_xor_b64 s[4:5], exec, s[30:31]
; %bb.273:
	v_bfe_u32 v30, v23, 16, 1
	s_movk_i32 s30, 0x7fff
	v_add3_u32 v58, v23, v30, s30
                                        ; implicit-def: $vgpr23
; %bb.274:
	s_andn2_saveexec_b64 s[30:31], s[4:5]
; %bb.275:
	v_mov_b32_e32 v30, 0
	v_or_b32_e32 v31, 0x10000, v23
	v_cmp_eq_u32_sdwa s[4:5], v23, v30 src0_sel:WORD_0 src1_sel:DWORD
	v_cndmask_b32_e64 v58, v31, v23, s[4:5]
; %bb.276:
	s_or_b64 exec, exec, s[30:31]
	v_sub_f32_e32 v205, v147, v149
	v_sub_f32_e32 v206, v155, v157
	v_add_f32_e32 v23, v205, v206
	v_mul_f32_e32 v23, s33, v23
	s_mov_b32 s4, 0x7f800000
	v_and_b32_e32 v30, 0x7f800000, v23
	v_cmp_ne_u32_e64 s[4:5], s4, v30
                                        ; implicit-def: $vgpr59
	s_and_saveexec_b64 s[30:31], s[4:5]
	s_xor_b64 s[4:5], exec, s[30:31]
; %bb.277:
	v_bfe_u32 v30, v23, 16, 1
	s_movk_i32 s30, 0x7fff
	v_add3_u32 v59, v23, v30, s30
                                        ; implicit-def: $vgpr23
; %bb.278:
	s_andn2_saveexec_b64 s[30:31], s[4:5]
; %bb.279:
	v_mov_b32_e32 v30, 0
	v_or_b32_e32 v31, 0x10000, v23
	v_cmp_eq_u32_sdwa s[4:5], v23, v30 src0_sel:WORD_0 src1_sel:DWORD
	v_cndmask_b32_e64 v59, v31, v23, s[4:5]
; %bb.280:
	s_or_b64 exec, exec, s[30:31]
	v_sub_f32_e32 v207, v159, v16
	v_sub_f32_e32 v208, v17, v18
	v_add_f32_e32 v16, v207, v208
	v_mul_f32_e32 v16, s33, v16
	s_mov_b32 s4, 0x7f800000
	v_and_b32_e32 v17, 0x7f800000, v16
	v_cmp_ne_u32_e64 s[4:5], s4, v17
                                        ; implicit-def: $vgpr60
	s_and_saveexec_b64 s[30:31], s[4:5]
	s_xor_b64 s[4:5], exec, s[30:31]
; %bb.281:
	v_bfe_u32 v17, v16, 16, 1
	s_movk_i32 s30, 0x7fff
	v_add3_u32 v60, v16, v17, s30
                                        ; implicit-def: $vgpr16
; %bb.282:
	s_andn2_saveexec_b64 s[30:31], s[4:5]
; %bb.283:
	v_mov_b32_e32 v17, 0
	v_or_b32_e32 v18, 0x10000, v16
	v_cmp_eq_u32_sdwa s[4:5], v16, v17 src0_sel:WORD_0 src1_sel:DWORD
	v_cndmask_b32_e64 v60, v18, v16, s[4:5]
; %bb.284:
	s_or_b64 exec, exec, s[30:31]
	v_sub_f32_e32 v209, v19, v20
	v_sub_f32_e32 v210, v21, v22
	v_add_f32_e32 v16, v209, v210
	v_mul_f32_e32 v16, s33, v16
	s_mov_b32 s4, 0x7f800000
	v_and_b32_e32 v17, 0x7f800000, v16
	v_cmp_ne_u32_e64 s[4:5], s4, v17
                                        ; implicit-def: $vgpr63
	s_and_saveexec_b64 s[30:31], s[4:5]
	s_xor_b64 s[4:5], exec, s[30:31]
; %bb.285:
	v_bfe_u32 v17, v16, 16, 1
	s_movk_i32 s30, 0x7fff
	v_add3_u32 v63, v16, v17, s30
                                        ; implicit-def: $vgpr16
; %bb.286:
	s_andn2_saveexec_b64 s[30:31], s[4:5]
; %bb.287:
	v_mov_b32_e32 v17, 0
	v_or_b32_e32 v18, 0x10000, v16
	v_cmp_eq_u32_sdwa s[4:5], v16, v17 src0_sel:WORD_0 src1_sel:DWORD
	v_cndmask_b32_e64 v63, v18, v16, s[4:5]
; %bb.288:
	s_or_b64 exec, exec, s[30:31]
	v_accvgpr_read_b32 v16, a36
	v_accvgpr_read_b32 v18, a38
	v_sub_f32_e32 v16, v16, v18
	v_mul_f32_e32 v16, s33, v16
	s_mov_b32 s4, 0x7f800000
	v_and_b32_e32 v17, 0x7f800000, v16
	v_cmp_ne_u32_e64 s[4:5], s4, v17
                                        ; implicit-def: $vgpr78
	s_and_saveexec_b64 s[30:31], s[4:5]
	s_xor_b64 s[4:5], exec, s[30:31]
; %bb.289:
	v_bfe_u32 v17, v16, 16, 1
	s_movk_i32 s30, 0x7fff
	v_add3_u32 v78, v16, v17, s30
                                        ; implicit-def: $vgpr16
; %bb.290:
	s_andn2_saveexec_b64 s[30:31], s[4:5]
; %bb.291:
	v_mov_b32_e32 v17, 0
	v_or_b32_e32 v18, 0x10000, v16
	v_cmp_eq_u32_sdwa s[4:5], v16, v17 src0_sel:WORD_0 src1_sel:DWORD
	v_cndmask_b32_e64 v78, v18, v16, s[4:5]
; %bb.292:
	s_or_b64 exec, exec, s[30:31]
	v_accvgpr_read_b32 v16, a37
	v_accvgpr_read_b32 v17, a39
	v_sub_f32_e32 v16, v16, v17
	v_mul_f32_e32 v16, s33, v16
	s_mov_b32 s4, 0x7f800000
	v_and_b32_e32 v17, 0x7f800000, v16
	v_cmp_ne_u32_e64 s[4:5], s4, v17
                                        ; implicit-def: $vgpr91
	s_and_saveexec_b64 s[30:31], s[4:5]
	s_xor_b64 s[4:5], exec, s[30:31]
; %bb.293:
	v_bfe_u32 v17, v16, 16, 1
	s_movk_i32 s30, 0x7fff
	v_add3_u32 v91, v16, v17, s30
                                        ; implicit-def: $vgpr16
; %bb.294:
	s_andn2_saveexec_b64 s[30:31], s[4:5]
; %bb.295:
	v_mov_b32_e32 v17, 0
	v_or_b32_e32 v18, 0x10000, v16
	v_cmp_eq_u32_sdwa s[4:5], v16, v17 src0_sel:WORD_0 src1_sel:DWORD
	v_cndmask_b32_e64 v91, v18, v16, s[4:5]
; %bb.296:
	s_or_b64 exec, exec, s[30:31]
	v_accvgpr_read_b32 v16, a40
	v_accvgpr_read_b32 v17, a41
	v_sub_f32_e32 v16, v16, v17
	v_mul_f32_e32 v16, s33, v16
	s_mov_b32 s4, 0x7f800000
	v_and_b32_e32 v17, 0x7f800000, v16
	v_cmp_ne_u32_e64 s[4:5], s4, v17
                                        ; implicit-def: $vgpr106
	s_and_saveexec_b64 s[30:31], s[4:5]
	s_xor_b64 s[4:5], exec, s[30:31]
; %bb.297:
	v_bfe_u32 v17, v16, 16, 1
	s_movk_i32 s30, 0x7fff
	v_add3_u32 v106, v16, v17, s30
                                        ; implicit-def: $vgpr16
; %bb.298:
	s_andn2_saveexec_b64 s[30:31], s[4:5]
; %bb.299:
	v_mov_b32_e32 v17, 0
	v_or_b32_e32 v18, 0x10000, v16
	v_cmp_eq_u32_sdwa s[4:5], v16, v17 src0_sel:WORD_0 src1_sel:DWORD
	v_cndmask_b32_e64 v106, v18, v16, s[4:5]
; %bb.300:
	s_or_b64 exec, exec, s[30:31]
	v_accvgpr_read_b32 v16, a42
	v_accvgpr_read_b32 v17, a43
	v_sub_f32_e32 v16, v16, v17
	v_mul_f32_e32 v16, s33, v16
	s_mov_b32 s4, 0x7f800000
	v_and_b32_e32 v17, 0x7f800000, v16
	v_cmp_ne_u32_e64 s[4:5], s4, v17
                                        ; implicit-def: $vgpr128
	s_and_saveexec_b64 s[30:31], s[4:5]
	s_xor_b64 s[4:5], exec, s[30:31]
; %bb.301:
	v_bfe_u32 v17, v16, 16, 1
	s_movk_i32 s30, 0x7fff
	v_add3_u32 v128, v16, v17, s30
                                        ; implicit-def: $vgpr16
; %bb.302:
	s_andn2_saveexec_b64 s[30:31], s[4:5]
; %bb.303:
	v_mov_b32_e32 v17, 0
	v_or_b32_e32 v18, 0x10000, v16
	v_cmp_eq_u32_sdwa s[4:5], v16, v17 src0_sel:WORD_0 src1_sel:DWORD
	v_cndmask_b32_e64 v128, v18, v16, s[4:5]
; %bb.304:
	s_or_b64 exec, exec, s[30:31]
	v_accvgpr_read_b32 v16, a44
	v_accvgpr_read_b32 v17, a45
	v_sub_f32_e32 v16, v16, v17
	v_mul_f32_e32 v16, s33, v16
	s_mov_b32 s4, 0x7f800000
	v_and_b32_e32 v17, 0x7f800000, v16
	v_cmp_ne_u32_e64 s[4:5], s4, v17
                                        ; implicit-def: $vgpr130
	s_and_saveexec_b64 s[30:31], s[4:5]
	s_xor_b64 s[4:5], exec, s[30:31]
; %bb.305:
	v_bfe_u32 v17, v16, 16, 1
	s_movk_i32 s30, 0x7fff
	v_add3_u32 v130, v16, v17, s30
                                        ; implicit-def: $vgpr16
; %bb.306:
	s_andn2_saveexec_b64 s[30:31], s[4:5]
; %bb.307:
	v_mov_b32_e32 v17, 0
	v_or_b32_e32 v18, 0x10000, v16
	v_cmp_eq_u32_sdwa s[4:5], v16, v17 src0_sel:WORD_0 src1_sel:DWORD
	v_cndmask_b32_e64 v130, v18, v16, s[4:5]
; %bb.308:
	s_or_b64 exec, exec, s[30:31]
	v_accvgpr_read_b32 v16, a46
	v_accvgpr_read_b32 v17, a47
	v_sub_f32_e32 v16, v16, v17
	v_mul_f32_e32 v16, s33, v16
	s_mov_b32 s4, 0x7f800000
	v_and_b32_e32 v17, 0x7f800000, v16
	v_cmp_ne_u32_e64 s[4:5], s4, v17
                                        ; implicit-def: $vgpr161
	s_and_saveexec_b64 s[30:31], s[4:5]
	s_xor_b64 s[4:5], exec, s[30:31]
; %bb.309:
	v_bfe_u32 v17, v16, 16, 1
	s_movk_i32 s30, 0x7fff
	v_add3_u32 v161, v16, v17, s30
                                        ; implicit-def: $vgpr16
; %bb.310:
	s_andn2_saveexec_b64 s[30:31], s[4:5]
; %bb.311:
	v_mov_b32_e32 v17, 0
	v_or_b32_e32 v18, 0x10000, v16
	v_cmp_eq_u32_sdwa s[4:5], v16, v17 src0_sel:WORD_0 src1_sel:DWORD
	v_cndmask_b32_e64 v161, v18, v16, s[4:5]
; %bb.312:
	s_or_b64 exec, exec, s[30:31]
	v_accvgpr_read_b32 v16, a48
	v_accvgpr_read_b32 v17, a49
	v_sub_f32_e32 v16, v16, v17
	v_mul_f32_e32 v16, s33, v16
	s_mov_b32 s4, 0x7f800000
	v_and_b32_e32 v17, 0x7f800000, v16
	v_cmp_ne_u32_e64 s[4:5], s4, v17
                                        ; implicit-def: $vgpr162
	s_and_saveexec_b64 s[30:31], s[4:5]
	s_xor_b64 s[4:5], exec, s[30:31]
; %bb.313:
	v_bfe_u32 v17, v16, 16, 1
	s_movk_i32 s30, 0x7fff
	v_add3_u32 v162, v16, v17, s30
                                        ; implicit-def: $vgpr16
; %bb.314:
	s_andn2_saveexec_b64 s[30:31], s[4:5]
; %bb.315:
	v_mov_b32_e32 v17, 0
	v_or_b32_e32 v18, 0x10000, v16
	v_cmp_eq_u32_sdwa s[4:5], v16, v17 src0_sel:WORD_0 src1_sel:DWORD
	v_cndmask_b32_e64 v162, v18, v16, s[4:5]
; %bb.316:
	s_or_b64 exec, exec, s[30:31]
	v_accvgpr_read_b32 v16, a50
	v_accvgpr_read_b32 v17, a51
	v_sub_f32_e32 v16, v16, v17
	v_mul_f32_e32 v16, s33, v16
	s_mov_b32 s4, 0x7f800000
	v_and_b32_e32 v17, 0x7f800000, v16
	v_cmp_ne_u32_e64 s[4:5], s4, v17
                                        ; implicit-def: $vgpr163
	s_and_saveexec_b64 s[30:31], s[4:5]
	s_xor_b64 s[4:5], exec, s[30:31]
; %bb.317:
	v_bfe_u32 v17, v16, 16, 1
	s_movk_i32 s30, 0x7fff
	v_add3_u32 v163, v16, v17, s30
                                        ; implicit-def: $vgpr16
; %bb.318:
	s_andn2_saveexec_b64 s[30:31], s[4:5]
; %bb.319:
	v_mov_b32_e32 v17, 0
	v_or_b32_e32 v18, 0x10000, v16
	v_cmp_eq_u32_sdwa s[4:5], v16, v17 src0_sel:WORD_0 src1_sel:DWORD
	v_cndmask_b32_e64 v163, v18, v16, s[4:5]
; %bb.320:
	s_or_b64 exec, exec, s[30:31]
	v_sub_f32_e32 v16, v64, v68
	v_mul_f32_e32 v16, s33, v16
	s_mov_b32 s4, 0x7f800000
	v_and_b32_e32 v17, 0x7f800000, v16
	v_cmp_ne_u32_e64 s[4:5], s4, v17
                                        ; implicit-def: $vgpr64
	s_and_saveexec_b64 s[30:31], s[4:5]
	s_xor_b64 s[4:5], exec, s[30:31]
; %bb.321:
	v_bfe_u32 v17, v16, 16, 1
	s_movk_i32 s30, 0x7fff
	v_add3_u32 v64, v16, v17, s30
                                        ; implicit-def: $vgpr16
; %bb.322:
	s_andn2_saveexec_b64 s[30:31], s[4:5]
; %bb.323:
	v_mov_b32_e32 v17, 0
	v_or_b32_e32 v18, 0x10000, v16
	v_cmp_eq_u32_sdwa s[4:5], v16, v17 src0_sel:WORD_0 src1_sel:DWORD
	v_cndmask_b32_e64 v64, v18, v16, s[4:5]
; %bb.324:
	s_or_b64 exec, exec, s[30:31]
	v_sub_f32_e32 v16, v65, v69
	v_mul_f32_e32 v16, s33, v16
	s_mov_b32 s4, 0x7f800000
	v_and_b32_e32 v17, 0x7f800000, v16
	v_cmp_ne_u32_e64 s[4:5], s4, v17
                                        ; implicit-def: $vgpr65
	s_and_saveexec_b64 s[30:31], s[4:5]
	s_xor_b64 s[4:5], exec, s[30:31]
; %bb.325:
	v_bfe_u32 v17, v16, 16, 1
	s_movk_i32 s30, 0x7fff
	v_add3_u32 v65, v16, v17, s30
                                        ; implicit-def: $vgpr16
; %bb.326:
	s_andn2_saveexec_b64 s[30:31], s[4:5]
; %bb.327:
	v_mov_b32_e32 v17, 0
	v_or_b32_e32 v18, 0x10000, v16
	v_cmp_eq_u32_sdwa s[4:5], v16, v17 src0_sel:WORD_0 src1_sel:DWORD
	v_cndmask_b32_e64 v65, v18, v16, s[4:5]
; %bb.328:
	s_or_b64 exec, exec, s[30:31]
	v_sub_f32_e32 v16, v66, v70
	v_mul_f32_e32 v16, s33, v16
	s_mov_b32 s4, 0x7f800000
	v_and_b32_e32 v17, 0x7f800000, v16
	v_cmp_ne_u32_e64 s[4:5], s4, v17
                                        ; implicit-def: $vgpr66
	s_and_saveexec_b64 s[30:31], s[4:5]
	s_xor_b64 s[4:5], exec, s[30:31]
; %bb.329:
	v_bfe_u32 v17, v16, 16, 1
	s_movk_i32 s30, 0x7fff
	v_add3_u32 v66, v16, v17, s30
                                        ; implicit-def: $vgpr16
; %bb.330:
	s_andn2_saveexec_b64 s[30:31], s[4:5]
; %bb.331:
	v_mov_b32_e32 v17, 0
	v_or_b32_e32 v18, 0x10000, v16
	v_cmp_eq_u32_sdwa s[4:5], v16, v17 src0_sel:WORD_0 src1_sel:DWORD
	v_cndmask_b32_e64 v66, v18, v16, s[4:5]
; %bb.332:
	s_or_b64 exec, exec, s[30:31]
	v_sub_f32_e32 v16, v67, v71
	v_mul_f32_e32 v16, s33, v16
	s_mov_b32 s4, 0x7f800000
	v_and_b32_e32 v17, 0x7f800000, v16
	v_cmp_ne_u32_e64 s[4:5], s4, v17
                                        ; implicit-def: $vgpr67
	s_and_saveexec_b64 s[30:31], s[4:5]
	s_xor_b64 s[4:5], exec, s[30:31]
; %bb.333:
	v_bfe_u32 v17, v16, 16, 1
	s_movk_i32 s30, 0x7fff
	v_add3_u32 v67, v16, v17, s30
                                        ; implicit-def: $vgpr16
; %bb.334:
	s_andn2_saveexec_b64 s[30:31], s[4:5]
; %bb.335:
	v_mov_b32_e32 v17, 0
	v_or_b32_e32 v18, 0x10000, v16
	v_cmp_eq_u32_sdwa s[4:5], v16, v17 src0_sel:WORD_0 src1_sel:DWORD
	v_cndmask_b32_e64 v67, v18, v16, s[4:5]
; %bb.336:
	s_or_b64 exec, exec, s[30:31]
	v_sub_f32_e32 v16, v72, v73
	v_mul_f32_e32 v16, s33, v16
	s_mov_b32 s4, 0x7f800000
	v_and_b32_e32 v17, 0x7f800000, v16
	v_cmp_ne_u32_e64 s[4:5], s4, v17
                                        ; implicit-def: $vgpr68
	s_and_saveexec_b64 s[30:31], s[4:5]
	s_xor_b64 s[4:5], exec, s[30:31]
; %bb.337:
	v_bfe_u32 v17, v16, 16, 1
	s_movk_i32 s30, 0x7fff
	v_add3_u32 v68, v16, v17, s30
                                        ; implicit-def: $vgpr16
; %bb.338:
	s_andn2_saveexec_b64 s[30:31], s[4:5]
; %bb.339:
	v_mov_b32_e32 v17, 0
	v_or_b32_e32 v18, 0x10000, v16
	v_cmp_eq_u32_sdwa s[4:5], v16, v17 src0_sel:WORD_0 src1_sel:DWORD
	v_cndmask_b32_e64 v68, v18, v16, s[4:5]
; %bb.340:
	s_or_b64 exec, exec, s[30:31]
	v_sub_f32_e32 v16, v61, v74
	v_mul_f32_e32 v16, s33, v16
	s_mov_b32 s4, 0x7f800000
	v_and_b32_e32 v17, 0x7f800000, v16
	v_cmp_ne_u32_e64 s[4:5], s4, v17
                                        ; implicit-def: $vgpr61
	s_and_saveexec_b64 s[30:31], s[4:5]
	s_xor_b64 s[4:5], exec, s[30:31]
; %bb.341:
	v_bfe_u32 v17, v16, 16, 1
	s_movk_i32 s30, 0x7fff
	v_add3_u32 v61, v16, v17, s30
                                        ; implicit-def: $vgpr16
; %bb.342:
	s_andn2_saveexec_b64 s[30:31], s[4:5]
; %bb.343:
	v_mov_b32_e32 v17, 0
	v_or_b32_e32 v18, 0x10000, v16
	v_cmp_eq_u32_sdwa s[4:5], v16, v17 src0_sel:WORD_0 src1_sel:DWORD
	v_cndmask_b32_e64 v61, v18, v16, s[4:5]
; %bb.344:
	s_or_b64 exec, exec, s[30:31]
	v_sub_f32_e32 v16, v62, v75
	v_mul_f32_e32 v16, s33, v16
	s_mov_b32 s4, 0x7f800000
	v_and_b32_e32 v17, 0x7f800000, v16
	v_cmp_ne_u32_e64 s[4:5], s4, v17
                                        ; implicit-def: $vgpr62
	s_and_saveexec_b64 s[30:31], s[4:5]
	s_xor_b64 s[4:5], exec, s[30:31]
; %bb.345:
	v_bfe_u32 v17, v16, 16, 1
	s_movk_i32 s30, 0x7fff
	v_add3_u32 v62, v16, v17, s30
                                        ; implicit-def: $vgpr16
; %bb.346:
	s_andn2_saveexec_b64 s[30:31], s[4:5]
; %bb.347:
	v_mov_b32_e32 v17, 0
	v_or_b32_e32 v18, 0x10000, v16
	v_cmp_eq_u32_sdwa s[4:5], v16, v17 src0_sel:WORD_0 src1_sel:DWORD
	v_cndmask_b32_e64 v62, v18, v16, s[4:5]
; %bb.348:
	s_or_b64 exec, exec, s[30:31]
	v_sub_f32_e32 v16, v76, v77
	v_mul_f32_e32 v16, s33, v16
	s_mov_b32 s4, 0x7f800000
	v_and_b32_e32 v17, 0x7f800000, v16
	v_cmp_ne_u32_e64 s[4:5], s4, v17
                                        ; implicit-def: $vgpr69
	s_and_saveexec_b64 s[30:31], s[4:5]
	s_xor_b64 s[4:5], exec, s[30:31]
; %bb.349:
	v_bfe_u32 v17, v16, 16, 1
	s_movk_i32 s30, 0x7fff
	v_add3_u32 v69, v16, v17, s30
                                        ; implicit-def: $vgpr16
; %bb.350:
	s_andn2_saveexec_b64 s[30:31], s[4:5]
; %bb.351:
	v_mov_b32_e32 v17, 0
	v_or_b32_e32 v18, 0x10000, v16
	v_cmp_eq_u32_sdwa s[4:5], v16, v17 src0_sel:WORD_0 src1_sel:DWORD
	v_cndmask_b32_e64 v69, v18, v16, s[4:5]
; %bb.352:
	s_or_b64 exec, exec, s[30:31]
	v_sub_f32_e32 v0, v0, v2
	v_mul_f32_e32 v2, s33, v0
	s_mov_b32 s4, 0x7f800000
	v_and_b32_e32 v0, 0x7f800000, v2
	v_cmp_ne_u32_e64 s[4:5], s4, v0
                                        ; implicit-def: $vgpr0
	s_and_saveexec_b64 s[30:31], s[4:5]
	s_xor_b64 s[4:5], exec, s[30:31]
; %bb.353:
	v_bfe_u32 v0, v2, 16, 1
	s_movk_i32 s30, 0x7fff
	v_add3_u32 v0, v2, v0, s30
                                        ; implicit-def: $vgpr2
; %bb.354:
	s_andn2_saveexec_b64 s[30:31], s[4:5]
; %bb.355:
	v_mov_b32_e32 v0, 0
	v_or_b32_e32 v16, 0x10000, v2
	v_cmp_eq_u32_sdwa s[4:5], v2, v0 src0_sel:WORD_0 src1_sel:DWORD
	v_cndmask_b32_e64 v0, v16, v2, s[4:5]
; %bb.356:
	s_or_b64 exec, exec, s[30:31]
	v_sub_f32_e32 v2, v79, v80
	v_mul_f32_e32 v16, s33, v2
	s_mov_b32 s4, 0x7f800000
	v_and_b32_e32 v2, 0x7f800000, v16
	v_cmp_ne_u32_e64 s[4:5], s4, v2
                                        ; implicit-def: $vgpr2
	s_and_saveexec_b64 s[30:31], s[4:5]
	s_xor_b64 s[4:5], exec, s[30:31]
; %bb.357:
	v_bfe_u32 v2, v16, 16, 1
	s_movk_i32 s30, 0x7fff
	v_add3_u32 v2, v16, v2, s30
                                        ; implicit-def: $vgpr16
; %bb.358:
	s_andn2_saveexec_b64 s[30:31], s[4:5]
; %bb.359:
	v_mov_b32_e32 v2, 0
	v_or_b32_e32 v17, 0x10000, v16
	v_cmp_eq_u32_sdwa s[4:5], v16, v2 src0_sel:WORD_0 src1_sel:DWORD
	v_cndmask_b32_e64 v2, v17, v16, s[4:5]
; %bb.360:
	s_or_b64 exec, exec, s[30:31]
	v_sub_f32_e32 v16, v81, v82
	v_mul_f32_e32 v16, s33, v16
	s_mov_b32 s4, 0x7f800000
	v_and_b32_e32 v17, 0x7f800000, v16
	v_cmp_ne_u32_e64 s[4:5], s4, v17
                                        ; implicit-def: $vgpr70
	s_and_saveexec_b64 s[30:31], s[4:5]
	s_xor_b64 s[4:5], exec, s[30:31]
; %bb.361:
	v_bfe_u32 v17, v16, 16, 1
	s_movk_i32 s30, 0x7fff
	v_add3_u32 v70, v16, v17, s30
                                        ; implicit-def: $vgpr16
; %bb.362:
	s_andn2_saveexec_b64 s[30:31], s[4:5]
; %bb.363:
	v_mov_b32_e32 v17, 0
	v_or_b32_e32 v18, 0x10000, v16
	v_cmp_eq_u32_sdwa s[4:5], v16, v17 src0_sel:WORD_0 src1_sel:DWORD
	v_cndmask_b32_e64 v70, v18, v16, s[4:5]
; %bb.364:
	s_or_b64 exec, exec, s[30:31]
	v_sub_f32_e32 v16, v83, v84
	v_mul_f32_e32 v16, s33, v16
	s_mov_b32 s4, 0x7f800000
	v_and_b32_e32 v17, 0x7f800000, v16
	v_cmp_ne_u32_e64 s[4:5], s4, v17
                                        ; implicit-def: $vgpr71
	s_and_saveexec_b64 s[30:31], s[4:5]
	s_xor_b64 s[4:5], exec, s[30:31]
; %bb.365:
	v_bfe_u32 v17, v16, 16, 1
	s_movk_i32 s30, 0x7fff
	v_add3_u32 v71, v16, v17, s30
                                        ; implicit-def: $vgpr16
; %bb.366:
	s_andn2_saveexec_b64 s[30:31], s[4:5]
; %bb.367:
	v_mov_b32_e32 v17, 0
	v_or_b32_e32 v18, 0x10000, v16
	v_cmp_eq_u32_sdwa s[4:5], v16, v17 src0_sel:WORD_0 src1_sel:DWORD
	v_cndmask_b32_e64 v71, v18, v16, s[4:5]
; %bb.368:
	s_or_b64 exec, exec, s[30:31]
	v_sub_f32_e32 v16, v85, v86
	v_mul_f32_e32 v16, s33, v16
	s_mov_b32 s4, 0x7f800000
	v_and_b32_e32 v17, 0x7f800000, v16
	v_cmp_ne_u32_e64 s[4:5], s4, v17
                                        ; implicit-def: $vgpr72
	s_and_saveexec_b64 s[30:31], s[4:5]
	s_xor_b64 s[4:5], exec, s[30:31]
; %bb.369:
	v_bfe_u32 v17, v16, 16, 1
	s_movk_i32 s30, 0x7fff
	v_add3_u32 v72, v16, v17, s30
                                        ; implicit-def: $vgpr16
; %bb.370:
	s_andn2_saveexec_b64 s[30:31], s[4:5]
; %bb.371:
	v_mov_b32_e32 v17, 0
	v_or_b32_e32 v18, 0x10000, v16
	v_cmp_eq_u32_sdwa s[4:5], v16, v17 src0_sel:WORD_0 src1_sel:DWORD
	v_cndmask_b32_e64 v72, v18, v16, s[4:5]
; %bb.372:
	s_or_b64 exec, exec, s[30:31]
	v_sub_f32_e32 v16, v87, v88
	v_mul_f32_e32 v16, s33, v16
	s_mov_b32 s4, 0x7f800000
	v_and_b32_e32 v17, 0x7f800000, v16
	v_cmp_ne_u32_e64 s[4:5], s4, v17
                                        ; implicit-def: $vgpr73
	s_and_saveexec_b64 s[30:31], s[4:5]
	s_xor_b64 s[4:5], exec, s[30:31]
; %bb.373:
	v_bfe_u32 v17, v16, 16, 1
	s_movk_i32 s30, 0x7fff
	v_add3_u32 v73, v16, v17, s30
                                        ; implicit-def: $vgpr16
; %bb.374:
	s_andn2_saveexec_b64 s[30:31], s[4:5]
; %bb.375:
	v_mov_b32_e32 v17, 0
	v_or_b32_e32 v18, 0x10000, v16
	v_cmp_eq_u32_sdwa s[4:5], v16, v17 src0_sel:WORD_0 src1_sel:DWORD
	v_cndmask_b32_e64 v73, v18, v16, s[4:5]
; %bb.376:
	s_or_b64 exec, exec, s[30:31]
	v_sub_f32_e32 v16, v89, v90
	v_mul_f32_e32 v16, s33, v16
	s_mov_b32 s4, 0x7f800000
	v_and_b32_e32 v17, 0x7f800000, v16
	v_cmp_ne_u32_e64 s[4:5], s4, v17
                                        ; implicit-def: $vgpr74
	s_and_saveexec_b64 s[30:31], s[4:5]
	s_xor_b64 s[4:5], exec, s[30:31]
; %bb.377:
	v_bfe_u32 v17, v16, 16, 1
	s_movk_i32 s30, 0x7fff
	v_add3_u32 v74, v16, v17, s30
                                        ; implicit-def: $vgpr16
; %bb.378:
	s_andn2_saveexec_b64 s[30:31], s[4:5]
; %bb.379:
	v_mov_b32_e32 v17, 0
	v_or_b32_e32 v18, 0x10000, v16
	v_cmp_eq_u32_sdwa s[4:5], v16, v17 src0_sel:WORD_0 src1_sel:DWORD
	v_cndmask_b32_e64 v74, v18, v16, s[4:5]
; %bb.380:
	s_or_b64 exec, exec, s[30:31]
	v_sub_f32_e32 v16, v92, v93
	v_mul_f32_e32 v16, s33, v16
	s_mov_b32 s4, 0x7f800000
	v_and_b32_e32 v17, 0x7f800000, v16
	v_cmp_ne_u32_e64 s[4:5], s4, v17
                                        ; implicit-def: $vgpr75
	s_and_saveexec_b64 s[30:31], s[4:5]
	s_xor_b64 s[4:5], exec, s[30:31]
; %bb.381:
	v_bfe_u32 v17, v16, 16, 1
	s_movk_i32 s30, 0x7fff
	v_add3_u32 v75, v16, v17, s30
                                        ; implicit-def: $vgpr16
; %bb.382:
	s_andn2_saveexec_b64 s[30:31], s[4:5]
; %bb.383:
	v_mov_b32_e32 v17, 0
	v_or_b32_e32 v18, 0x10000, v16
	v_cmp_eq_u32_sdwa s[4:5], v16, v17 src0_sel:WORD_0 src1_sel:DWORD
	v_cndmask_b32_e64 v75, v18, v16, s[4:5]
; %bb.384:
	s_or_b64 exec, exec, s[30:31]
	v_sub_f32_e32 v16, v94, v95
	v_mul_f32_e32 v16, s33, v16
	s_mov_b32 s4, 0x7f800000
	v_and_b32_e32 v17, 0x7f800000, v16
	v_cmp_ne_u32_e64 s[4:5], s4, v17
                                        ; implicit-def: $vgpr76
	s_and_saveexec_b64 s[30:31], s[4:5]
	s_xor_b64 s[4:5], exec, s[30:31]
; %bb.385:
	v_bfe_u32 v17, v16, 16, 1
	s_movk_i32 s30, 0x7fff
	v_add3_u32 v76, v16, v17, s30
                                        ; implicit-def: $vgpr16
; %bb.386:
	s_andn2_saveexec_b64 s[30:31], s[4:5]
; %bb.387:
	v_mov_b32_e32 v17, 0
	v_or_b32_e32 v18, 0x10000, v16
	v_cmp_eq_u32_sdwa s[4:5], v16, v17 src0_sel:WORD_0 src1_sel:DWORD
	v_cndmask_b32_e64 v76, v18, v16, s[4:5]
; %bb.388:
	s_or_b64 exec, exec, s[30:31]
	v_sub_f32_e32 v16, v96, v97
	v_mul_f32_e32 v16, s33, v16
	s_mov_b32 s4, 0x7f800000
	v_and_b32_e32 v17, 0x7f800000, v16
	v_cmp_ne_u32_e64 s[4:5], s4, v17
                                        ; implicit-def: $vgpr77
	s_and_saveexec_b64 s[30:31], s[4:5]
	s_xor_b64 s[4:5], exec, s[30:31]
; %bb.389:
	v_bfe_u32 v17, v16, 16, 1
	s_movk_i32 s30, 0x7fff
	v_add3_u32 v77, v16, v17, s30
                                        ; implicit-def: $vgpr16
; %bb.390:
	s_andn2_saveexec_b64 s[30:31], s[4:5]
; %bb.391:
	v_mov_b32_e32 v17, 0
	v_or_b32_e32 v18, 0x10000, v16
	v_cmp_eq_u32_sdwa s[4:5], v16, v17 src0_sel:WORD_0 src1_sel:DWORD
	v_cndmask_b32_e64 v77, v18, v16, s[4:5]
; %bb.392:
	s_or_b64 exec, exec, s[30:31]
	v_sub_f32_e32 v16, v98, v99
	v_mul_f32_e32 v16, s33, v16
	s_mov_b32 s4, 0x7f800000
	v_and_b32_e32 v17, 0x7f800000, v16
	v_cmp_ne_u32_e64 s[4:5], s4, v17
                                        ; implicit-def: $vgpr79
	s_and_saveexec_b64 s[30:31], s[4:5]
	s_xor_b64 s[4:5], exec, s[30:31]
; %bb.393:
	v_bfe_u32 v17, v16, 16, 1
	s_movk_i32 s30, 0x7fff
	v_add3_u32 v79, v16, v17, s30
                                        ; implicit-def: $vgpr16
; %bb.394:
	s_andn2_saveexec_b64 s[30:31], s[4:5]
; %bb.395:
	v_mov_b32_e32 v17, 0
	v_or_b32_e32 v18, 0x10000, v16
	v_cmp_eq_u32_sdwa s[4:5], v16, v17 src0_sel:WORD_0 src1_sel:DWORD
	v_cndmask_b32_e64 v79, v18, v16, s[4:5]
; %bb.396:
	s_or_b64 exec, exec, s[30:31]
	v_sub_f32_e32 v16, v100, v101
	v_mul_f32_e32 v16, s33, v16
	s_mov_b32 s4, 0x7f800000
	v_and_b32_e32 v17, 0x7f800000, v16
	v_cmp_ne_u32_e64 s[4:5], s4, v17
                                        ; implicit-def: $vgpr80
	s_and_saveexec_b64 s[30:31], s[4:5]
	s_xor_b64 s[4:5], exec, s[30:31]
; %bb.397:
	v_bfe_u32 v17, v16, 16, 1
	s_movk_i32 s30, 0x7fff
	v_add3_u32 v80, v16, v17, s30
                                        ; implicit-def: $vgpr16
; %bb.398:
	s_andn2_saveexec_b64 s[30:31], s[4:5]
; %bb.399:
	v_mov_b32_e32 v17, 0
	v_or_b32_e32 v18, 0x10000, v16
	v_cmp_eq_u32_sdwa s[4:5], v16, v17 src0_sel:WORD_0 src1_sel:DWORD
	v_cndmask_b32_e64 v80, v18, v16, s[4:5]
; %bb.400:
	s_or_b64 exec, exec, s[30:31]
	v_sub_f32_e32 v16, v102, v103
	v_mul_f32_e32 v16, s33, v16
	s_mov_b32 s4, 0x7f800000
	v_and_b32_e32 v17, 0x7f800000, v16
	v_cmp_ne_u32_e64 s[4:5], s4, v17
                                        ; implicit-def: $vgpr81
	s_and_saveexec_b64 s[30:31], s[4:5]
	s_xor_b64 s[4:5], exec, s[30:31]
; %bb.401:
	v_bfe_u32 v17, v16, 16, 1
	s_movk_i32 s30, 0x7fff
	v_add3_u32 v81, v16, v17, s30
                                        ; implicit-def: $vgpr16
; %bb.402:
	s_andn2_saveexec_b64 s[30:31], s[4:5]
; %bb.403:
	v_mov_b32_e32 v17, 0
	v_or_b32_e32 v18, 0x10000, v16
	v_cmp_eq_u32_sdwa s[4:5], v16, v17 src0_sel:WORD_0 src1_sel:DWORD
	v_cndmask_b32_e64 v81, v18, v16, s[4:5]
; %bb.404:
	s_or_b64 exec, exec, s[30:31]
	v_sub_f32_e32 v16, v104, v105
	v_mul_f32_e32 v16, s33, v16
	s_mov_b32 s4, 0x7f800000
	v_and_b32_e32 v17, 0x7f800000, v16
	v_cmp_ne_u32_e64 s[4:5], s4, v17
                                        ; implicit-def: $vgpr82
	s_and_saveexec_b64 s[30:31], s[4:5]
	s_xor_b64 s[4:5], exec, s[30:31]
; %bb.405:
	v_bfe_u32 v17, v16, 16, 1
	s_movk_i32 s30, 0x7fff
	v_add3_u32 v82, v16, v17, s30
                                        ; implicit-def: $vgpr16
; %bb.406:
	s_andn2_saveexec_b64 s[30:31], s[4:5]
; %bb.407:
	v_mov_b32_e32 v17, 0
	v_or_b32_e32 v18, 0x10000, v16
	v_cmp_eq_u32_sdwa s[4:5], v16, v17 src0_sel:WORD_0 src1_sel:DWORD
	v_cndmask_b32_e64 v82, v18, v16, s[4:5]
; %bb.408:
	s_or_b64 exec, exec, s[30:31]
	v_sub_f32_e32 v16, v107, v108
	v_mul_f32_e32 v16, s33, v16
	s_mov_b32 s4, 0x7f800000
	v_and_b32_e32 v17, 0x7f800000, v16
	v_cmp_ne_u32_e64 s[4:5], s4, v17
                                        ; implicit-def: $vgpr83
	s_and_saveexec_b64 s[30:31], s[4:5]
	s_xor_b64 s[4:5], exec, s[30:31]
; %bb.409:
	v_bfe_u32 v17, v16, 16, 1
	s_movk_i32 s30, 0x7fff
	v_add3_u32 v83, v16, v17, s30
                                        ; implicit-def: $vgpr16
; %bb.410:
	s_andn2_saveexec_b64 s[30:31], s[4:5]
; %bb.411:
	v_mov_b32_e32 v17, 0
	v_or_b32_e32 v18, 0x10000, v16
	v_cmp_eq_u32_sdwa s[4:5], v16, v17 src0_sel:WORD_0 src1_sel:DWORD
	v_cndmask_b32_e64 v83, v18, v16, s[4:5]
; %bb.412:
	s_or_b64 exec, exec, s[30:31]
	v_sub_f32_e32 v16, v109, v110
	v_mul_f32_e32 v16, s33, v16
	s_mov_b32 s4, 0x7f800000
	v_and_b32_e32 v17, 0x7f800000, v16
	v_cmp_ne_u32_e64 s[4:5], s4, v17
                                        ; implicit-def: $vgpr84
	s_and_saveexec_b64 s[30:31], s[4:5]
	s_xor_b64 s[4:5], exec, s[30:31]
; %bb.413:
	v_bfe_u32 v17, v16, 16, 1
	s_movk_i32 s30, 0x7fff
	v_add3_u32 v84, v16, v17, s30
                                        ; implicit-def: $vgpr16
; %bb.414:
	s_andn2_saveexec_b64 s[30:31], s[4:5]
; %bb.415:
	v_mov_b32_e32 v17, 0
	v_or_b32_e32 v18, 0x10000, v16
	v_cmp_eq_u32_sdwa s[4:5], v16, v17 src0_sel:WORD_0 src1_sel:DWORD
	v_cndmask_b32_e64 v84, v18, v16, s[4:5]
; %bb.416:
	s_or_b64 exec, exec, s[30:31]
	v_sub_f32_e32 v4, v4, v6
	v_mul_f32_e32 v6, s33, v4
	s_mov_b32 s4, 0x7f800000
	v_and_b32_e32 v4, 0x7f800000, v6
	v_cmp_ne_u32_e64 s[4:5], s4, v4
                                        ; implicit-def: $vgpr4
	s_and_saveexec_b64 s[30:31], s[4:5]
	s_xor_b64 s[4:5], exec, s[30:31]
; %bb.417:
	v_bfe_u32 v4, v6, 16, 1
	s_movk_i32 s30, 0x7fff
	v_add3_u32 v4, v6, v4, s30
                                        ; implicit-def: $vgpr6
; %bb.418:
	s_andn2_saveexec_b64 s[30:31], s[4:5]
; %bb.419:
	v_mov_b32_e32 v4, 0
	v_or_b32_e32 v16, 0x10000, v6
	v_cmp_eq_u32_sdwa s[4:5], v6, v4 src0_sel:WORD_0 src1_sel:DWORD
	v_cndmask_b32_e64 v4, v16, v6, s[4:5]
; %bb.420:
	s_or_b64 exec, exec, s[30:31]
	v_sub_f32_e32 v6, v111, v112
	v_mul_f32_e32 v16, s33, v6
	s_mov_b32 s4, 0x7f800000
	v_and_b32_e32 v6, 0x7f800000, v16
	v_cmp_ne_u32_e64 s[4:5], s4, v6
                                        ; implicit-def: $vgpr6
	s_and_saveexec_b64 s[30:31], s[4:5]
	s_xor_b64 s[4:5], exec, s[30:31]
; %bb.421:
	v_bfe_u32 v6, v16, 16, 1
	s_movk_i32 s30, 0x7fff
	v_add3_u32 v6, v16, v6, s30
                                        ; implicit-def: $vgpr16
; %bb.422:
	s_andn2_saveexec_b64 s[30:31], s[4:5]
; %bb.423:
	v_mov_b32_e32 v6, 0
	v_or_b32_e32 v17, 0x10000, v16
	v_cmp_eq_u32_sdwa s[4:5], v16, v6 src0_sel:WORD_0 src1_sel:DWORD
	v_cndmask_b32_e64 v6, v17, v16, s[4:5]
; %bb.424:
	s_or_b64 exec, exec, s[30:31]
	v_sub_f32_e32 v16, v113, v114
	v_mul_f32_e32 v16, s33, v16
	s_mov_b32 s4, 0x7f800000
	v_and_b32_e32 v17, 0x7f800000, v16
	v_cmp_ne_u32_e64 s[4:5], s4, v17
                                        ; implicit-def: $vgpr85
	s_and_saveexec_b64 s[30:31], s[4:5]
	s_xor_b64 s[4:5], exec, s[30:31]
; %bb.425:
	v_bfe_u32 v17, v16, 16, 1
	s_movk_i32 s30, 0x7fff
	v_add3_u32 v85, v16, v17, s30
                                        ; implicit-def: $vgpr16
; %bb.426:
	s_andn2_saveexec_b64 s[30:31], s[4:5]
; %bb.427:
	v_mov_b32_e32 v17, 0
	v_or_b32_e32 v18, 0x10000, v16
	v_cmp_eq_u32_sdwa s[4:5], v16, v17 src0_sel:WORD_0 src1_sel:DWORD
	v_cndmask_b32_e64 v85, v18, v16, s[4:5]
; %bb.428:
	s_or_b64 exec, exec, s[30:31]
	v_sub_f32_e32 v16, v115, v116
	v_mul_f32_e32 v16, s33, v16
	s_mov_b32 s4, 0x7f800000
	v_and_b32_e32 v17, 0x7f800000, v16
	v_cmp_ne_u32_e64 s[4:5], s4, v17
                                        ; implicit-def: $vgpr86
	s_and_saveexec_b64 s[30:31], s[4:5]
	s_xor_b64 s[4:5], exec, s[30:31]
; %bb.429:
	v_bfe_u32 v17, v16, 16, 1
	s_movk_i32 s30, 0x7fff
	v_add3_u32 v86, v16, v17, s30
                                        ; implicit-def: $vgpr16
; %bb.430:
	s_andn2_saveexec_b64 s[30:31], s[4:5]
; %bb.431:
	v_mov_b32_e32 v17, 0
	v_or_b32_e32 v18, 0x10000, v16
	v_cmp_eq_u32_sdwa s[4:5], v16, v17 src0_sel:WORD_0 src1_sel:DWORD
	v_cndmask_b32_e64 v86, v18, v16, s[4:5]
; %bb.432:
	s_or_b64 exec, exec, s[30:31]
	v_sub_f32_e32 v16, v117, v118
	v_mul_f32_e32 v16, s33, v16
	s_mov_b32 s4, 0x7f800000
	v_and_b32_e32 v17, 0x7f800000, v16
	v_cmp_ne_u32_e64 s[4:5], s4, v17
                                        ; implicit-def: $vgpr87
	s_and_saveexec_b64 s[30:31], s[4:5]
	s_xor_b64 s[4:5], exec, s[30:31]
; %bb.433:
	v_bfe_u32 v17, v16, 16, 1
	s_movk_i32 s30, 0x7fff
	v_add3_u32 v87, v16, v17, s30
                                        ; implicit-def: $vgpr16
; %bb.434:
	s_andn2_saveexec_b64 s[30:31], s[4:5]
; %bb.435:
	v_mov_b32_e32 v17, 0
	v_or_b32_e32 v18, 0x10000, v16
	v_cmp_eq_u32_sdwa s[4:5], v16, v17 src0_sel:WORD_0 src1_sel:DWORD
	v_cndmask_b32_e64 v87, v18, v16, s[4:5]
; %bb.436:
	s_or_b64 exec, exec, s[30:31]
	v_sub_f32_e32 v16, v119, v120
	v_mul_f32_e32 v17, s33, v16
	s_mov_b32 s4, 0x7f800000
	v_and_b32_e32 v16, 0x7f800000, v17
	v_cmp_ne_u32_e64 s[4:5], s4, v16
                                        ; implicit-def: $vgpr16
	s_and_saveexec_b64 s[30:31], s[4:5]
	s_xor_b64 s[4:5], exec, s[30:31]
; %bb.437:
	v_bfe_u32 v16, v17, 16, 1
	s_movk_i32 s30, 0x7fff
	v_add3_u32 v16, v17, v16, s30
                                        ; implicit-def: $vgpr17
; %bb.438:
	s_andn2_saveexec_b64 s[30:31], s[4:5]
; %bb.439:
	v_mov_b32_e32 v16, 0
	v_or_b32_e32 v18, 0x10000, v17
	v_cmp_eq_u32_sdwa s[4:5], v17, v16 src0_sel:WORD_0 src1_sel:DWORD
	v_cndmask_b32_e64 v16, v18, v17, s[4:5]
; %bb.440:
	s_or_b64 exec, exec, s[30:31]
	v_sub_f32_e32 v17, v121, v122
	v_mul_f32_e32 v18, s33, v17
	s_mov_b32 s4, 0x7f800000
	v_and_b32_e32 v17, 0x7f800000, v18
	v_cmp_ne_u32_e64 s[4:5], s4, v17
                                        ; implicit-def: $vgpr17
	s_and_saveexec_b64 s[30:31], s[4:5]
	s_xor_b64 s[4:5], exec, s[30:31]
; %bb.441:
	v_bfe_u32 v17, v18, 16, 1
	s_movk_i32 s30, 0x7fff
	v_add3_u32 v17, v18, v17, s30
                                        ; implicit-def: $vgpr18
; %bb.442:
	s_andn2_saveexec_b64 s[30:31], s[4:5]
; %bb.443:
	v_mov_b32_e32 v17, 0
	v_or_b32_e32 v19, 0x10000, v18
	v_cmp_eq_u32_sdwa s[4:5], v18, v17 src0_sel:WORD_0 src1_sel:DWORD
	v_cndmask_b32_e64 v17, v19, v18, s[4:5]
; %bb.444:
	s_or_b64 exec, exec, s[30:31]
	v_sub_f32_e32 v18, v123, v124
	v_mul_f32_e32 v19, s33, v18
	s_mov_b32 s4, 0x7f800000
	v_and_b32_e32 v18, 0x7f800000, v19
	v_cmp_ne_u32_e64 s[4:5], s4, v18
                                        ; implicit-def: $vgpr18
	s_and_saveexec_b64 s[30:31], s[4:5]
	s_xor_b64 s[4:5], exec, s[30:31]
; %bb.445:
	v_bfe_u32 v18, v19, 16, 1
	s_movk_i32 s30, 0x7fff
	v_add3_u32 v18, v19, v18, s30
                                        ; implicit-def: $vgpr19
; %bb.446:
	s_andn2_saveexec_b64 s[30:31], s[4:5]
; %bb.447:
	v_mov_b32_e32 v18, 0
	v_or_b32_e32 v20, 0x10000, v19
	v_cmp_eq_u32_sdwa s[4:5], v19, v18 src0_sel:WORD_0 src1_sel:DWORD
	v_cndmask_b32_e64 v18, v20, v19, s[4:5]
; %bb.448:
	s_or_b64 exec, exec, s[30:31]
	v_sub_f32_e32 v19, v125, v126
	v_mul_f32_e32 v20, s33, v19
	s_mov_b32 s4, 0x7f800000
	v_and_b32_e32 v19, 0x7f800000, v20
	v_cmp_ne_u32_e64 s[4:5], s4, v19
                                        ; implicit-def: $vgpr19
	s_and_saveexec_b64 s[30:31], s[4:5]
	s_xor_b64 s[4:5], exec, s[30:31]
; %bb.449:
	v_bfe_u32 v19, v20, 16, 1
	s_movk_i32 s30, 0x7fff
	v_add3_u32 v19, v20, v19, s30
                                        ; implicit-def: $vgpr20
; %bb.450:
	s_andn2_saveexec_b64 s[30:31], s[4:5]
; %bb.451:
	v_mov_b32_e32 v19, 0
	v_or_b32_e32 v21, 0x10000, v20
	v_cmp_eq_u32_sdwa s[4:5], v20, v19 src0_sel:WORD_0 src1_sel:DWORD
	v_cndmask_b32_e64 v19, v21, v20, s[4:5]
; %bb.452:
	s_or_b64 exec, exec, s[30:31]
	v_sub_f32_e32 v20, v127, v132
	v_mul_f32_e32 v21, s33, v20
	s_mov_b32 s4, 0x7f800000
	v_and_b32_e32 v20, 0x7f800000, v21
	v_cmp_ne_u32_e64 s[4:5], s4, v20
                                        ; implicit-def: $vgpr20
	s_and_saveexec_b64 s[30:31], s[4:5]
	s_xor_b64 s[4:5], exec, s[30:31]
; %bb.453:
	v_bfe_u32 v20, v21, 16, 1
	s_movk_i32 s30, 0x7fff
	v_add3_u32 v20, v21, v20, s30
                                        ; implicit-def: $vgpr21
; %bb.454:
	s_andn2_saveexec_b64 s[30:31], s[4:5]
; %bb.455:
	v_mov_b32_e32 v20, 0
	v_or_b32_e32 v22, 0x10000, v21
	v_cmp_eq_u32_sdwa s[4:5], v21, v20 src0_sel:WORD_0 src1_sel:DWORD
	v_cndmask_b32_e64 v20, v22, v21, s[4:5]
; %bb.456:
	s_or_b64 exec, exec, s[30:31]
	v_sub_f32_e32 v21, v133, v134
	v_mul_f32_e32 v22, s33, v21
	s_mov_b32 s4, 0x7f800000
	v_and_b32_e32 v21, 0x7f800000, v22
	v_cmp_ne_u32_e64 s[4:5], s4, v21
                                        ; implicit-def: $vgpr21
	s_and_saveexec_b64 s[30:31], s[4:5]
	s_xor_b64 s[4:5], exec, s[30:31]
; %bb.457:
	v_bfe_u32 v21, v22, 16, 1
	s_movk_i32 s30, 0x7fff
	v_add3_u32 v21, v22, v21, s30
                                        ; implicit-def: $vgpr22
; %bb.458:
	s_andn2_saveexec_b64 s[30:31], s[4:5]
; %bb.459:
	v_mov_b32_e32 v21, 0
	v_or_b32_e32 v23, 0x10000, v22
	v_cmp_eq_u32_sdwa s[4:5], v22, v21 src0_sel:WORD_0 src1_sel:DWORD
	v_cndmask_b32_e64 v21, v23, v22, s[4:5]
; %bb.460:
	s_or_b64 exec, exec, s[30:31]
	v_sub_f32_e32 v22, v135, v136
	v_mul_f32_e32 v23, s33, v22
	s_mov_b32 s4, 0x7f800000
	v_and_b32_e32 v22, 0x7f800000, v23
	v_cmp_ne_u32_e64 s[4:5], s4, v22
                                        ; implicit-def: $vgpr22
	s_and_saveexec_b64 s[30:31], s[4:5]
	s_xor_b64 s[4:5], exec, s[30:31]
; %bb.461:
	v_bfe_u32 v22, v23, 16, 1
	s_movk_i32 s30, 0x7fff
	v_add3_u32 v22, v23, v22, s30
                                        ; implicit-def: $vgpr23
; %bb.462:
	s_andn2_saveexec_b64 s[30:31], s[4:5]
; %bb.463:
	v_mov_b32_e32 v22, 0
	v_or_b32_e32 v30, 0x10000, v23
	v_cmp_eq_u32_sdwa s[4:5], v23, v22 src0_sel:WORD_0 src1_sel:DWORD
	v_cndmask_b32_e64 v22, v30, v23, s[4:5]
; %bb.464:
	s_or_b64 exec, exec, s[30:31]
	v_sub_f32_e32 v23, v137, v138
	v_mul_f32_e32 v23, s33, v23
	s_mov_b32 s4, 0x7f800000
	v_and_b32_e32 v30, 0x7f800000, v23
	v_cmp_ne_u32_e64 s[4:5], s4, v30
                                        ; implicit-def: $vgpr88
	s_and_saveexec_b64 s[30:31], s[4:5]
	s_xor_b64 s[4:5], exec, s[30:31]
; %bb.465:
	v_bfe_u32 v30, v23, 16, 1
	s_movk_i32 s30, 0x7fff
	v_add3_u32 v88, v23, v30, s30
                                        ; implicit-def: $vgpr23
; %bb.466:
	s_andn2_saveexec_b64 s[30:31], s[4:5]
; %bb.467:
	v_mov_b32_e32 v30, 0
	v_or_b32_e32 v31, 0x10000, v23
	v_cmp_eq_u32_sdwa s[4:5], v23, v30 src0_sel:WORD_0 src1_sel:DWORD
	v_cndmask_b32_e64 v88, v31, v23, s[4:5]
; %bb.468:
	s_or_b64 exec, exec, s[30:31]
	v_sub_f32_e32 v23, v139, v140
	v_mul_f32_e32 v23, s33, v23
	s_mov_b32 s4, 0x7f800000
	v_and_b32_e32 v30, 0x7f800000, v23
	v_cmp_ne_u32_e64 s[4:5], s4, v30
                                        ; implicit-def: $vgpr89
	s_and_saveexec_b64 s[30:31], s[4:5]
	s_xor_b64 s[4:5], exec, s[30:31]
; %bb.469:
	v_bfe_u32 v30, v23, 16, 1
	s_movk_i32 s30, 0x7fff
	v_add3_u32 v89, v23, v30, s30
                                        ; implicit-def: $vgpr23
; %bb.470:
	s_andn2_saveexec_b64 s[30:31], s[4:5]
; %bb.471:
	v_mov_b32_e32 v30, 0
	v_or_b32_e32 v31, 0x10000, v23
	v_cmp_eq_u32_sdwa s[4:5], v23, v30 src0_sel:WORD_0 src1_sel:DWORD
	v_cndmask_b32_e64 v89, v31, v23, s[4:5]
; %bb.472:
	s_or_b64 exec, exec, s[30:31]
	v_sub_f32_e32 v23, v141, v142
	v_mul_f32_e32 v23, s33, v23
	s_mov_b32 s4, 0x7f800000
	v_and_b32_e32 v30, 0x7f800000, v23
	v_cmp_ne_u32_e64 s[4:5], s4, v30
                                        ; implicit-def: $vgpr90
	s_and_saveexec_b64 s[30:31], s[4:5]
	s_xor_b64 s[4:5], exec, s[30:31]
; %bb.473:
	v_bfe_u32 v30, v23, 16, 1
	s_movk_i32 s30, 0x7fff
	v_add3_u32 v90, v23, v30, s30
                                        ; implicit-def: $vgpr23
; %bb.474:
	s_andn2_saveexec_b64 s[30:31], s[4:5]
; %bb.475:
	v_mov_b32_e32 v30, 0
	v_or_b32_e32 v31, 0x10000, v23
	v_cmp_eq_u32_sdwa s[4:5], v23, v30 src0_sel:WORD_0 src1_sel:DWORD
	v_cndmask_b32_e64 v90, v31, v23, s[4:5]
; %bb.476:
	s_or_b64 exec, exec, s[30:31]
	v_sub_f32_e32 v23, v143, v150
	v_mul_f32_e32 v23, s33, v23
	s_mov_b32 s4, 0x7f800000
	v_and_b32_e32 v30, 0x7f800000, v23
	v_cmp_ne_u32_e64 s[4:5], s4, v30
                                        ; implicit-def: $vgpr92
	s_and_saveexec_b64 s[30:31], s[4:5]
	s_xor_b64 s[4:5], exec, s[30:31]
; %bb.477:
	v_bfe_u32 v30, v23, 16, 1
	s_movk_i32 s30, 0x7fff
	v_add3_u32 v92, v23, v30, s30
                                        ; implicit-def: $vgpr23
; %bb.478:
	s_andn2_saveexec_b64 s[30:31], s[4:5]
; %bb.479:
	v_mov_b32_e32 v30, 0
	v_or_b32_e32 v31, 0x10000, v23
	v_cmp_eq_u32_sdwa s[4:5], v23, v30 src0_sel:WORD_0 src1_sel:DWORD
	v_cndmask_b32_e64 v92, v31, v23, s[4:5]
; %bb.480:
	s_or_b64 exec, exec, s[30:31]
	v_sub_f32_e32 v8, v8, v10
	v_mul_f32_e32 v10, s33, v8
	s_mov_b32 s4, 0x7f800000
	v_and_b32_e32 v8, 0x7f800000, v10
	v_cmp_ne_u32_e64 s[4:5], s4, v8
                                        ; implicit-def: $vgpr8
	s_and_saveexec_b64 s[30:31], s[4:5]
	s_xor_b64 s[4:5], exec, s[30:31]
; %bb.481:
	v_bfe_u32 v8, v10, 16, 1
	s_movk_i32 s30, 0x7fff
	v_add3_u32 v8, v10, v8, s30
                                        ; implicit-def: $vgpr10
; %bb.482:
	s_andn2_saveexec_b64 s[30:31], s[4:5]
; %bb.483:
	v_mov_b32_e32 v8, 0
	v_or_b32_e32 v23, 0x10000, v10
	v_cmp_eq_u32_sdwa s[4:5], v10, v8 src0_sel:WORD_0 src1_sel:DWORD
	v_cndmask_b32_e64 v8, v23, v10, s[4:5]
; %bb.484:
	s_or_b64 exec, exec, s[30:31]
	v_sub_f32_e32 v10, v151, v152
	v_mul_f32_e32 v23, s33, v10
	s_mov_b32 s4, 0x7f800000
	v_and_b32_e32 v10, 0x7f800000, v23
	v_cmp_ne_u32_e64 s[4:5], s4, v10
                                        ; implicit-def: $vgpr10
	s_and_saveexec_b64 s[30:31], s[4:5]
	s_xor_b64 s[4:5], exec, s[30:31]
; %bb.485:
	v_bfe_u32 v10, v23, 16, 1
	s_movk_i32 s30, 0x7fff
	v_add3_u32 v10, v23, v10, s30
                                        ; implicit-def: $vgpr23
; %bb.486:
	s_andn2_saveexec_b64 s[30:31], s[4:5]
; %bb.487:
	v_mov_b32_e32 v10, 0
	v_or_b32_e32 v30, 0x10000, v23
	v_cmp_eq_u32_sdwa s[4:5], v23, v10 src0_sel:WORD_0 src1_sel:DWORD
	v_cndmask_b32_e64 v10, v30, v23, s[4:5]
; %bb.488:
	s_or_b64 exec, exec, s[30:31]
	v_sub_f32_e32 v23, v153, v154
	v_mul_f32_e32 v23, s33, v23
	s_mov_b32 s4, 0x7f800000
	v_and_b32_e32 v30, 0x7f800000, v23
	v_cmp_ne_u32_e64 s[4:5], s4, v30
                                        ; implicit-def: $vgpr93
	s_and_saveexec_b64 s[30:31], s[4:5]
	s_xor_b64 s[4:5], exec, s[30:31]
; %bb.489:
	v_bfe_u32 v30, v23, 16, 1
	s_movk_i32 s30, 0x7fff
	v_add3_u32 v93, v23, v30, s30
                                        ; implicit-def: $vgpr23
; %bb.490:
	s_andn2_saveexec_b64 s[30:31], s[4:5]
; %bb.491:
	v_mov_b32_e32 v30, 0
	v_or_b32_e32 v31, 0x10000, v23
	v_cmp_eq_u32_sdwa s[4:5], v23, v30 src0_sel:WORD_0 src1_sel:DWORD
	v_cndmask_b32_e64 v93, v31, v23, s[4:5]
; %bb.492:
	s_or_b64 exec, exec, s[30:31]
	v_sub_f32_e32 v23, v156, v158
	v_mul_f32_e32 v23, s33, v23
	s_mov_b32 s4, 0x7f800000
	v_and_b32_e32 v30, 0x7f800000, v23
	v_cmp_ne_u32_e64 s[4:5], s4, v30
                                        ; implicit-def: $vgpr94
	s_and_saveexec_b64 s[30:31], s[4:5]
	s_xor_b64 s[4:5], exec, s[30:31]
; %bb.493:
	v_bfe_u32 v30, v23, 16, 1
	s_movk_i32 s30, 0x7fff
	v_add3_u32 v94, v23, v30, s30
                                        ; implicit-def: $vgpr23
; %bb.494:
	s_andn2_saveexec_b64 s[30:31], s[4:5]
; %bb.495:
	v_mov_b32_e32 v30, 0
	v_or_b32_e32 v31, 0x10000, v23
	v_cmp_eq_u32_sdwa s[4:5], v23, v30 src0_sel:WORD_0 src1_sel:DWORD
	v_cndmask_b32_e64 v94, v31, v23, s[4:5]
; %bb.496:
	s_or_b64 exec, exec, s[30:31]
	v_sub_f32_e32 v23, v160, v175
	v_mul_f32_e32 v30, s33, v23
	s_mov_b32 s4, 0x7f800000
	v_and_b32_e32 v23, 0x7f800000, v30
	v_cmp_ne_u32_e64 s[4:5], s4, v23
                                        ; implicit-def: $vgpr23
	s_and_saveexec_b64 s[30:31], s[4:5]
	s_xor_b64 s[4:5], exec, s[30:31]
; %bb.497:
	v_bfe_u32 v23, v30, 16, 1
	s_movk_i32 s30, 0x7fff
	v_add3_u32 v23, v30, v23, s30
                                        ; implicit-def: $vgpr30
; %bb.498:
	s_andn2_saveexec_b64 s[30:31], s[4:5]
; %bb.499:
	v_mov_b32_e32 v23, 0
	v_or_b32_e32 v31, 0x10000, v30
	v_cmp_eq_u32_sdwa s[4:5], v30, v23 src0_sel:WORD_0 src1_sel:DWORD
	v_cndmask_b32_e64 v23, v31, v30, s[4:5]
; %bb.500:
	s_or_b64 exec, exec, s[30:31]
	v_sub_f32_e32 v30, v176, v177
	v_mul_f32_e32 v31, s33, v30
	s_mov_b32 s4, 0x7f800000
	v_and_b32_e32 v30, 0x7f800000, v31
	v_cmp_ne_u32_e64 s[4:5], s4, v30
                                        ; implicit-def: $vgpr30
	s_and_saveexec_b64 s[30:31], s[4:5]
	s_xor_b64 s[4:5], exec, s[30:31]
; %bb.501:
	v_bfe_u32 v30, v31, 16, 1
	s_movk_i32 s30, 0x7fff
	v_add3_u32 v30, v31, v30, s30
                                        ; implicit-def: $vgpr31
; %bb.502:
	s_andn2_saveexec_b64 s[30:31], s[4:5]
; %bb.503:
	v_mov_b32_e32 v30, 0
	v_or_b32_e32 v32, 0x10000, v31
	v_cmp_eq_u32_sdwa s[4:5], v31, v30 src0_sel:WORD_0 src1_sel:DWORD
	v_cndmask_b32_e64 v30, v32, v31, s[4:5]
; %bb.504:
	s_or_b64 exec, exec, s[30:31]
	v_sub_f32_e32 v31, v178, v179
	v_mul_f32_e32 v32, s33, v31
	s_mov_b32 s4, 0x7f800000
	v_and_b32_e32 v31, 0x7f800000, v32
	v_cmp_ne_u32_e64 s[4:5], s4, v31
                                        ; implicit-def: $vgpr31
	s_and_saveexec_b64 s[30:31], s[4:5]
	s_xor_b64 s[4:5], exec, s[30:31]
; %bb.505:
	v_bfe_u32 v31, v32, 16, 1
	s_movk_i32 s30, 0x7fff
	v_add3_u32 v31, v32, v31, s30
                                        ; implicit-def: $vgpr32
; %bb.506:
	s_andn2_saveexec_b64 s[30:31], s[4:5]
; %bb.507:
	v_mov_b32_e32 v31, 0
	v_or_b32_e32 v33, 0x10000, v32
	v_cmp_eq_u32_sdwa s[4:5], v32, v31 src0_sel:WORD_0 src1_sel:DWORD
	v_cndmask_b32_e64 v31, v33, v32, s[4:5]
; %bb.508:
	s_or_b64 exec, exec, s[30:31]
	v_sub_f32_e32 v32, v193, v194
	v_mul_f32_e32 v33, s33, v32
	s_mov_b32 s4, 0x7f800000
	v_and_b32_e32 v32, 0x7f800000, v33
	v_cmp_ne_u32_e64 s[4:5], s4, v32
                                        ; implicit-def: $vgpr32
	s_and_saveexec_b64 s[30:31], s[4:5]
	s_xor_b64 s[4:5], exec, s[30:31]
; %bb.509:
	v_bfe_u32 v32, v33, 16, 1
	s_movk_i32 s30, 0x7fff
	v_add3_u32 v32, v33, v32, s30
                                        ; implicit-def: $vgpr33
; %bb.510:
	s_andn2_saveexec_b64 s[30:31], s[4:5]
; %bb.511:
	v_mov_b32_e32 v32, 0
	v_or_b32_e32 v34, 0x10000, v33
	v_cmp_eq_u32_sdwa s[4:5], v33, v32 src0_sel:WORD_0 src1_sel:DWORD
	v_cndmask_b32_e64 v32, v34, v33, s[4:5]
; %bb.512:
	s_or_b64 exec, exec, s[30:31]
	v_sub_f32_e32 v33, v195, v196
	v_mul_f32_e32 v34, s33, v33
	s_mov_b32 s4, 0x7f800000
	v_and_b32_e32 v33, 0x7f800000, v34
	v_cmp_ne_u32_e64 s[4:5], s4, v33
                                        ; implicit-def: $vgpr33
	s_and_saveexec_b64 s[30:31], s[4:5]
	s_xor_b64 s[4:5], exec, s[30:31]
; %bb.513:
	v_bfe_u32 v33, v34, 16, 1
	s_movk_i32 s30, 0x7fff
	v_add3_u32 v33, v34, v33, s30
                                        ; implicit-def: $vgpr34
; %bb.514:
	s_andn2_saveexec_b64 s[30:31], s[4:5]
; %bb.515:
	v_mov_b32_e32 v33, 0
	v_or_b32_e32 v35, 0x10000, v34
	v_cmp_eq_u32_sdwa s[4:5], v34, v33 src0_sel:WORD_0 src1_sel:DWORD
	v_cndmask_b32_e64 v33, v35, v34, s[4:5]
; %bb.516:
	s_or_b64 exec, exec, s[30:31]
	v_sub_f32_e32 v34, v197, v198
	v_mul_f32_e32 v35, s33, v34
	s_mov_b32 s4, 0x7f800000
	v_and_b32_e32 v34, 0x7f800000, v35
	v_cmp_ne_u32_e64 s[4:5], s4, v34
                                        ; implicit-def: $vgpr34
	s_and_saveexec_b64 s[30:31], s[4:5]
	s_xor_b64 s[4:5], exec, s[30:31]
; %bb.517:
	v_bfe_u32 v34, v35, 16, 1
	s_movk_i32 s30, 0x7fff
	v_add3_u32 v34, v35, v34, s30
                                        ; implicit-def: $vgpr35
; %bb.518:
	s_andn2_saveexec_b64 s[30:31], s[4:5]
; %bb.519:
	v_mov_b32_e32 v34, 0
	v_or_b32_e32 v95, 0x10000, v35
	v_cmp_eq_u32_sdwa s[4:5], v35, v34 src0_sel:WORD_0 src1_sel:DWORD
	v_cndmask_b32_e64 v34, v95, v35, s[4:5]
; %bb.520:
	s_or_b64 exec, exec, s[30:31]
	v_sub_f32_e32 v35, v199, v200
	v_mul_f32_e32 v95, s33, v35
	s_mov_b32 s4, 0x7f800000
	v_and_b32_e32 v35, 0x7f800000, v95
	v_cmp_ne_u32_e64 s[4:5], s4, v35
                                        ; implicit-def: $vgpr35
	s_and_saveexec_b64 s[30:31], s[4:5]
	s_xor_b64 s[4:5], exec, s[30:31]
; %bb.521:
	v_bfe_u32 v35, v95, 16, 1
	s_movk_i32 s30, 0x7fff
	v_add3_u32 v35, v95, v35, s30
                                        ; implicit-def: $vgpr95
; %bb.522:
	s_andn2_saveexec_b64 s[30:31], s[4:5]
; %bb.523:
	v_mov_b32_e32 v35, 0
	v_or_b32_e32 v96, 0x10000, v95
	v_cmp_eq_u32_sdwa s[4:5], v95, v35 src0_sel:WORD_0 src1_sel:DWORD
	v_cndmask_b32_e64 v35, v96, v95, s[4:5]
; %bb.524:
	s_or_b64 exec, exec, s[30:31]
	v_sub_f32_e32 v95, v201, v202
	v_mul_f32_e32 v96, s33, v95
	s_mov_b32 s4, 0x7f800000
	v_and_b32_e32 v95, 0x7f800000, v96
	v_cmp_ne_u32_e64 s[4:5], s4, v95
                                        ; implicit-def: $vgpr95
	s_and_saveexec_b64 s[30:31], s[4:5]
	s_xor_b64 s[4:5], exec, s[30:31]
; %bb.525:
	v_bfe_u32 v95, v96, 16, 1
	s_movk_i32 s30, 0x7fff
	v_add3_u32 v95, v96, v95, s30
                                        ; implicit-def: $vgpr96
; %bb.526:
	s_andn2_saveexec_b64 s[30:31], s[4:5]
; %bb.527:
	v_mov_b32_e32 v95, 0
	v_or_b32_e32 v97, 0x10000, v96
	v_cmp_eq_u32_sdwa s[4:5], v96, v95 src0_sel:WORD_0 src1_sel:DWORD
	v_cndmask_b32_e64 v95, v97, v96, s[4:5]
; %bb.528:
	s_or_b64 exec, exec, s[30:31]
	v_sub_f32_e32 v96, v203, v204
	v_mul_f32_e32 v97, s33, v96
	s_mov_b32 s4, 0x7f800000
	v_and_b32_e32 v96, 0x7f800000, v97
	v_cmp_ne_u32_e64 s[4:5], s4, v96
                                        ; implicit-def: $vgpr96
	s_and_saveexec_b64 s[30:31], s[4:5]
	s_xor_b64 s[4:5], exec, s[30:31]
; %bb.529:
	v_bfe_u32 v96, v97, 16, 1
	s_movk_i32 s30, 0x7fff
	v_add3_u32 v96, v97, v96, s30
                                        ; implicit-def: $vgpr97
; %bb.530:
	s_andn2_saveexec_b64 s[30:31], s[4:5]
; %bb.531:
	v_mov_b32_e32 v96, 0
	v_or_b32_e32 v98, 0x10000, v97
	v_cmp_eq_u32_sdwa s[4:5], v97, v96 src0_sel:WORD_0 src1_sel:DWORD
	v_cndmask_b32_e64 v96, v98, v97, s[4:5]
; %bb.532:
	s_or_b64 exec, exec, s[30:31]
	v_sub_f32_e32 v97, v205, v206
	v_mul_f32_e32 v98, s33, v97
	s_mov_b32 s4, 0x7f800000
	v_and_b32_e32 v97, 0x7f800000, v98
	v_cmp_ne_u32_e64 s[4:5], s4, v97
                                        ; implicit-def: $vgpr97
	s_and_saveexec_b64 s[30:31], s[4:5]
	s_xor_b64 s[4:5], exec, s[30:31]
; %bb.533:
	v_bfe_u32 v97, v98, 16, 1
	s_movk_i32 s30, 0x7fff
	v_add3_u32 v97, v98, v97, s30
                                        ; implicit-def: $vgpr98
; %bb.534:
	s_andn2_saveexec_b64 s[30:31], s[4:5]
; %bb.535:
	v_mov_b32_e32 v97, 0
	v_or_b32_e32 v99, 0x10000, v98
	v_cmp_eq_u32_sdwa s[4:5], v98, v97 src0_sel:WORD_0 src1_sel:DWORD
	v_cndmask_b32_e64 v97, v99, v98, s[4:5]
; %bb.536:
	s_or_b64 exec, exec, s[30:31]
	v_sub_f32_e32 v98, v207, v208
	v_mul_f32_e32 v99, s33, v98
	s_mov_b32 s4, 0x7f800000
	v_and_b32_e32 v98, 0x7f800000, v99
	v_cmp_ne_u32_e64 s[4:5], s4, v98
                                        ; implicit-def: $vgpr98
	s_and_saveexec_b64 s[30:31], s[4:5]
	s_xor_b64 s[4:5], exec, s[30:31]
; %bb.537:
	v_bfe_u32 v98, v99, 16, 1
	s_movk_i32 s30, 0x7fff
	v_add3_u32 v98, v99, v98, s30
                                        ; implicit-def: $vgpr99
; %bb.538:
	s_andn2_saveexec_b64 s[30:31], s[4:5]
; %bb.539:
	v_mov_b32_e32 v98, 0
	v_or_b32_e32 v100, 0x10000, v99
	v_cmp_eq_u32_sdwa s[4:5], v99, v98 src0_sel:WORD_0 src1_sel:DWORD
	v_cndmask_b32_e64 v98, v100, v99, s[4:5]
; %bb.540:
	s_or_b64 exec, exec, s[30:31]
	v_sub_f32_e32 v99, v209, v210
	v_mul_f32_e32 v100, s33, v99
	s_mov_b32 s4, 0x7f800000
	v_and_b32_e32 v99, 0x7f800000, v100
	v_cmp_ne_u32_e64 s[4:5], s4, v99
                                        ; implicit-def: $vgpr99
	s_and_saveexec_b64 s[30:31], s[4:5]
	s_xor_b64 s[4:5], exec, s[30:31]
; %bb.541:
	v_bfe_u32 v99, v100, 16, 1
	s_movk_i32 s30, 0x7fff
	v_add3_u32 v99, v100, v99, s30
                                        ; implicit-def: $vgpr100
; %bb.542:
	s_andn2_saveexec_b64 s[30:31], s[4:5]
; %bb.543:
	v_mov_b32_e32 v99, 0
	v_or_b32_e32 v101, 0x10000, v100
	v_cmp_eq_u32_sdwa s[4:5], v100, v99 src0_sel:WORD_0 src1_sel:DWORD
	v_cndmask_b32_e64 v99, v101, v100, s[4:5]
; %bb.544:
	s_or_b64 exec, exec, s[30:31]
	s_mul_i32 s4, s42, s7
	s_mul_hi_u32 s5, s42, s6
	s_add_i32 s4, s5, s4
	s_mul_i32 s5, s43, s6
	s_add_i32 s5, s4, s5
	s_mul_i32 s4, s42, s6
	s_lshl_b64 s[4:5], s[4:5], 1
	s_add_u32 s4, s46, s4
	s_addc_u32 s5, s47, s5
	s_and_saveexec_b64 s[6:7], vcc
	s_cbranch_execnz .LBB38_561
; %bb.545:
	s_or_b64 exec, exec, s[6:7]
	s_and_saveexec_b64 s[6:7], s[0:1]
	s_cbranch_execnz .LBB38_562
.LBB38_546:
	s_or_b64 exec, exec, s[6:7]
	s_and_saveexec_b64 s[0:1], s[2:3]
	s_cbranch_execnz .LBB38_563
.LBB38_547:
	s_or_b64 exec, exec, s[0:1]
	s_and_saveexec_b64 s[0:1], s[36:37]
	s_cbranch_execnz .LBB38_564
.LBB38_548:
	s_or_b64 exec, exec, s[0:1]
	s_and_saveexec_b64 s[0:1], s[38:39]
	s_cbranch_execnz .LBB38_565
.LBB38_549:
	s_or_b64 exec, exec, s[0:1]
	s_and_saveexec_b64 s[0:1], s[8:9]
	s_cbranch_execnz .LBB38_566
.LBB38_550:
	s_or_b64 exec, exec, s[0:1]
	s_and_saveexec_b64 s[0:1], s[10:11]
	s_cbranch_execnz .LBB38_567
.LBB38_551:
	s_or_b64 exec, exec, s[0:1]
	s_and_saveexec_b64 s[0:1], s[12:13]
	s_cbranch_execnz .LBB38_568
.LBB38_552:
	s_or_b64 exec, exec, s[0:1]
	s_and_saveexec_b64 s[0:1], s[14:15]
	s_cbranch_execnz .LBB38_569
.LBB38_553:
	s_or_b64 exec, exec, s[0:1]
	s_and_saveexec_b64 s[0:1], s[16:17]
	s_cbranch_execnz .LBB38_570
.LBB38_554:
	s_or_b64 exec, exec, s[0:1]
	s_and_saveexec_b64 s[0:1], s[18:19]
	s_cbranch_execnz .LBB38_571
.LBB38_555:
	s_or_b64 exec, exec, s[0:1]
	s_and_saveexec_b64 s[0:1], s[20:21]
	s_cbranch_execnz .LBB38_572
.LBB38_556:
	s_or_b64 exec, exec, s[0:1]
	s_and_saveexec_b64 s[0:1], s[22:23]
	s_cbranch_execnz .LBB38_573
.LBB38_557:
	s_or_b64 exec, exec, s[0:1]
	s_and_saveexec_b64 s[0:1], s[24:25]
	s_cbranch_execnz .LBB38_574
.LBB38_558:
	s_or_b64 exec, exec, s[0:1]
	s_and_saveexec_b64 s[0:1], s[26:27]
	s_cbranch_execnz .LBB38_575
.LBB38_559:
	s_or_b64 exec, exec, s[0:1]
	s_and_saveexec_b64 s[0:1], s[28:29]
	s_cbranch_execnz .LBB38_576
.LBB38_560:
	s_endpgm
.LBB38_561:
	s_mov_b32 s30, 0x7060302
	v_accvgpr_read_b32 v100, a22
	v_accvgpr_read_b32 v101, a23
	v_perm_b32 v103, v101, v100, s30
	v_accvgpr_read_b32 v100, a20
	v_accvgpr_read_b32 v101, a21
	v_perm_b32 v102, v101, v100, s30
	;; [unrolled: 3-line block ×4, first 2 shown]
	v_accvgpr_read_b32 v104, a0
	global_store_dwordx4 v104, v[100:103], s[4:5]
	s_or_b64 exec, exec, s[6:7]
	s_and_saveexec_b64 s[6:7], s[0:1]
	s_cbranch_execz .LBB38_546
.LBB38_562:
	s_mov_b32 s0, 0x7060302
	v_accvgpr_read_b32 v100, a30
	v_accvgpr_read_b32 v101, a31
	v_perm_b32 v103, v101, v100, s0
	v_accvgpr_read_b32 v100, a28
	v_accvgpr_read_b32 v101, a29
	v_perm_b32 v102, v101, v100, s0
	;; [unrolled: 3-line block ×4, first 2 shown]
	v_accvgpr_read_b32 v104, a1
	global_store_dwordx4 v104, v[100:103], s[4:5]
	s_or_b64 exec, exec, s[6:7]
	s_and_saveexec_b64 s[0:1], s[2:3]
	s_cbranch_execz .LBB38_547
.LBB38_563:
	s_mov_b32 s2, 0x7060302
	v_perm_b32 v102, v1, v3, s2
	v_accvgpr_read_b32 v1, a34
	v_accvgpr_read_b32 v3, a35
	v_perm_b32 v101, v3, v1, s2
	v_accvgpr_read_b32 v1, a32
	v_accvgpr_read_b32 v3, a33
	v_perm_b32 v103, v146, v144, s2
	v_perm_b32 v100, v3, v1, s2
	v_accvgpr_read_b32 v1, a2
	global_store_dwordx4 v1, v[100:103], s[4:5]
	s_or_b64 exec, exec, s[0:1]
	s_and_saveexec_b64 s[0:1], s[36:37]
	s_cbranch_execz .LBB38_548
.LBB38_564:
	s_mov_b32 s2, 0x7060302
	v_perm_b32 v103, v37, v36, s2
	v_perm_b32 v102, v29, v28, s2
	;; [unrolled: 1-line block ×4, first 2 shown]
	v_accvgpr_read_b32 v1, a3
	global_store_dwordx4 v1, v[100:103], s[4:5]
	s_or_b64 exec, exec, s[0:1]
	s_and_saveexec_b64 s[0:1], s[38:39]
	s_cbranch_execz .LBB38_549
.LBB38_565:
	s_mov_b32 s2, 0x7060302
	v_perm_b32 v27, v43, v42, s2
	v_perm_b32 v26, v41, v40, s2
	;; [unrolled: 1-line block ×4, first 2 shown]
	v_accvgpr_read_b32 v1, a4
	global_store_dwordx4 v1, v[24:27], s[4:5]
	s_or_b64 exec, exec, s[0:1]
	s_and_saveexec_b64 s[0:1], s[8:9]
	s_cbranch_execz .LBB38_550
.LBB38_566:
	s_mov_b32 s2, 0x7060302
	v_perm_b32 v27, v51, v50, s2
	v_perm_b32 v26, v49, v48, s2
	;; [unrolled: 1-line block ×4, first 2 shown]
	v_accvgpr_read_b32 v1, a5
	global_store_dwordx4 v1, v[24:27], s[4:5]
	s_or_b64 exec, exec, s[0:1]
	s_and_saveexec_b64 s[0:1], s[10:11]
	s_cbranch_execz .LBB38_551
.LBB38_567:
	s_mov_b32 s2, 0x7060302
	v_perm_b32 v27, v53, v52, s2
	v_perm_b32 v26, v15, v14, s2
	;; [unrolled: 1-line block ×4, first 2 shown]
	v_accvgpr_read_b32 v1, a6
	global_store_dwordx4 v1, v[24:27], s[4:5]
	s_or_b64 exec, exec, s[0:1]
	s_and_saveexec_b64 s[0:1], s[12:13]
	s_cbranch_execz .LBB38_552
.LBB38_568:
	s_mov_b32 s2, 0x7060302
	v_perm_b32 v15, v63, v60, s2
	v_perm_b32 v14, v59, v58, s2
	;; [unrolled: 1-line block ×4, first 2 shown]
	v_accvgpr_read_b32 v1, a7
	global_store_dwordx4 v1, v[12:15], s[4:5]
	s_or_b64 exec, exec, s[0:1]
	s_and_saveexec_b64 s[0:1], s[14:15]
	s_cbranch_execz .LBB38_553
.LBB38_569:
	s_mov_b32 s2, 0x7060302
	v_perm_b32 v15, v163, v162, s2
	v_perm_b32 v14, v161, v130, s2
	;; [unrolled: 1-line block ×4, first 2 shown]
	v_accvgpr_read_b32 v1, a8
	global_store_dwordx4 v1, v[12:15], s[4:5]
	s_or_b64 exec, exec, s[0:1]
	s_and_saveexec_b64 s[0:1], s[16:17]
	s_cbranch_execz .LBB38_554
.LBB38_570:
	s_mov_b32 s2, 0x7060302
	v_perm_b32 v15, v69, v62, s2
	v_perm_b32 v14, v61, v68, s2
	;; [unrolled: 1-line block ×4, first 2 shown]
	v_accvgpr_read_b32 v1, a9
	global_store_dwordx4 v1, v[12:15], s[4:5]
	s_or_b64 exec, exec, s[0:1]
	s_and_saveexec_b64 s[0:1], s[18:19]
	s_cbranch_execz .LBB38_555
.LBB38_571:
	s_mov_b32 s2, 0x7060302
	v_perm_b32 v15, v75, v74, s2
	v_perm_b32 v14, v73, v72, s2
	;; [unrolled: 1-line block ×4, first 2 shown]
	v_accvgpr_read_b32 v0, a10
	global_store_dwordx4 v0, v[12:15], s[4:5]
	s_or_b64 exec, exec, s[0:1]
	s_and_saveexec_b64 s[0:1], s[20:21]
	s_cbranch_execz .LBB38_556
.LBB38_572:
	s_mov_b32 s2, 0x7060302
	v_perm_b32 v3, v84, v83, s2
	v_perm_b32 v2, v82, v81, s2
	;; [unrolled: 1-line block ×4, first 2 shown]
	v_accvgpr_read_b32 v5, a11
	global_store_dwordx4 v5, v[0:3], s[4:5]
	s_or_b64 exec, exec, s[0:1]
	s_and_saveexec_b64 s[0:1], s[22:23]
	s_cbranch_execz .LBB38_557
.LBB38_573:
	s_mov_b32 s2, 0x7060302
	v_perm_b32 v3, v18, v17, s2
	v_perm_b32 v2, v16, v87, s2
	;; [unrolled: 1-line block ×4, first 2 shown]
	v_accvgpr_read_b32 v4, a12
	global_store_dwordx4 v4, v[0:3], s[4:5]
	s_or_b64 exec, exec, s[0:1]
	s_and_saveexec_b64 s[0:1], s[24:25]
	s_cbranch_execz .LBB38_558
.LBB38_574:
	v_accvgpr_read_b32 v0, a14
	v_mov_b32_e32 v1, 0
	v_lshlrev_b64 v[0:1], 4, v[0:1]
	v_mov_b32_e32 v2, s5
	v_add_co_u32_e32 v4, vcc, s4, v0
	s_mov_b32 s2, 0x7060302
	v_addc_co_u32_e32 v5, vcc, v2, v1, vcc
	v_perm_b32 v3, v92, v90, s2
	v_perm_b32 v2, v89, v88, s2
	;; [unrolled: 1-line block ×4, first 2 shown]
	global_store_dwordx4 v[4:5], v[0:3], off
	s_or_b64 exec, exec, s[0:1]
	s_and_saveexec_b64 s[0:1], s[26:27]
	s_cbranch_execz .LBB38_559
.LBB38_575:
	v_accvgpr_read_b32 v0, a16
	v_mov_b32_e32 v1, 0
	v_lshlrev_b64 v[0:1], 4, v[0:1]
	v_mov_b32_e32 v2, s5
	v_add_co_u32_e32 v4, vcc, s4, v0
	s_mov_b32 s2, 0x7060302
	v_addc_co_u32_e32 v5, vcc, v2, v1, vcc
	v_perm_b32 v3, v32, v31, s2
	v_perm_b32 v2, v30, v23, s2
	;; [unrolled: 1-line block ×4, first 2 shown]
	global_store_dwordx4 v[4:5], v[0:3], off
	s_or_b64 exec, exec, s[0:1]
	s_and_saveexec_b64 s[0:1], s[28:29]
	s_cbranch_execz .LBB38_560
.LBB38_576:
	v_accvgpr_read_b32 v0, a18
	v_mov_b32_e32 v1, 0
	v_lshlrev_b64 v[0:1], 4, v[0:1]
	v_mov_b32_e32 v2, s5
	v_add_co_u32_e32 v4, vcc, s4, v0
	s_mov_b32 s0, 0x7060302
	v_addc_co_u32_e32 v5, vcc, v2, v1, vcc
	v_perm_b32 v3, v99, v98, s0
	v_perm_b32 v2, v97, v96, s0
	;; [unrolled: 1-line block ×4, first 2 shown]
	global_store_dwordx4 v[4:5], v[0:3], off
	s_endpgm
	.section	.rodata,"a",@progbits
	.p2align	6, 0x0
	.amdhsa_kernel _Z30fast_hadamard_transform_kernelI37fast_hadamard_transform_kernel_traitsILi256ELi15E14__hip_bfloat16EEv18HadamardParamsBase
		.amdhsa_group_segment_fixed_size 0
		.amdhsa_private_segment_fixed_size 0
		.amdhsa_kernarg_size 312
		.amdhsa_user_sgpr_count 6
		.amdhsa_user_sgpr_private_segment_buffer 1
		.amdhsa_user_sgpr_dispatch_ptr 0
		.amdhsa_user_sgpr_queue_ptr 0
		.amdhsa_user_sgpr_kernarg_segment_ptr 1
		.amdhsa_user_sgpr_dispatch_id 0
		.amdhsa_user_sgpr_flat_scratch_init 0
		.amdhsa_user_sgpr_kernarg_preload_length 0
		.amdhsa_user_sgpr_kernarg_preload_offset 0
		.amdhsa_user_sgpr_private_segment_size 0
		.amdhsa_uses_dynamic_stack 0
		.amdhsa_system_sgpr_private_segment_wavefront_offset 0
		.amdhsa_system_sgpr_workgroup_id_x 1
		.amdhsa_system_sgpr_workgroup_id_y 0
		.amdhsa_system_sgpr_workgroup_id_z 0
		.amdhsa_system_sgpr_workgroup_info 0
		.amdhsa_system_vgpr_workitem_id 0
		.amdhsa_next_free_vgpr 308
		.amdhsa_next_free_sgpr 49
		.amdhsa_accum_offset 256
		.amdhsa_reserve_vcc 1
		.amdhsa_reserve_flat_scratch 0
		.amdhsa_float_round_mode_32 0
		.amdhsa_float_round_mode_16_64 0
		.amdhsa_float_denorm_mode_32 3
		.amdhsa_float_denorm_mode_16_64 3
		.amdhsa_dx10_clamp 1
		.amdhsa_ieee_mode 1
		.amdhsa_fp16_overflow 0
		.amdhsa_tg_split 0
		.amdhsa_exception_fp_ieee_invalid_op 0
		.amdhsa_exception_fp_denorm_src 0
		.amdhsa_exception_fp_ieee_div_zero 0
		.amdhsa_exception_fp_ieee_overflow 0
		.amdhsa_exception_fp_ieee_underflow 0
		.amdhsa_exception_fp_ieee_inexact 0
		.amdhsa_exception_int_div_zero 0
	.end_amdhsa_kernel
	.section	.text._Z30fast_hadamard_transform_kernelI37fast_hadamard_transform_kernel_traitsILi256ELi15E14__hip_bfloat16EEv18HadamardParamsBase,"axG",@progbits,_Z30fast_hadamard_transform_kernelI37fast_hadamard_transform_kernel_traitsILi256ELi15E14__hip_bfloat16EEv18HadamardParamsBase,comdat
.Lfunc_end38:
	.size	_Z30fast_hadamard_transform_kernelI37fast_hadamard_transform_kernel_traitsILi256ELi15E14__hip_bfloat16EEv18HadamardParamsBase, .Lfunc_end38-_Z30fast_hadamard_transform_kernelI37fast_hadamard_transform_kernel_traitsILi256ELi15E14__hip_bfloat16EEv18HadamardParamsBase
                                        ; -- End function
	.section	.AMDGPU.csdata,"",@progbits
; Kernel info:
; codeLenInByte = 45304
; NumSgprs: 53
; NumVgprs: 256
; NumAgprs: 52
; TotalNumVgprs: 308
; ScratchSize: 0
; MemoryBound: 0
; FloatMode: 240
; IeeeMode: 1
; LDSByteSize: 0 bytes/workgroup (compile time only)
; SGPRBlocks: 6
; VGPRBlocks: 38
; NumSGPRsForWavesPerEU: 53
; NumVGPRsForWavesPerEU: 308
; AccumOffset: 256
; Occupancy: 1
; WaveLimiterHint : 0
; COMPUTE_PGM_RSRC2:SCRATCH_EN: 0
; COMPUTE_PGM_RSRC2:USER_SGPR: 6
; COMPUTE_PGM_RSRC2:TRAP_HANDLER: 0
; COMPUTE_PGM_RSRC2:TGID_X_EN: 1
; COMPUTE_PGM_RSRC2:TGID_Y_EN: 0
; COMPUTE_PGM_RSRC2:TGID_Z_EN: 0
; COMPUTE_PGM_RSRC2:TIDIG_COMP_CNT: 0
; COMPUTE_PGM_RSRC3_GFX90A:ACCUM_OFFSET: 63
; COMPUTE_PGM_RSRC3_GFX90A:TG_SPLIT: 0
	.text
	.p2alignl 6, 3212836864
	.fill 256, 4, 3212836864
	.type	__hip_cuid_84a21281ccd8b17a,@object ; @__hip_cuid_84a21281ccd8b17a
	.section	.bss,"aw",@nobits
	.globl	__hip_cuid_84a21281ccd8b17a
__hip_cuid_84a21281ccd8b17a:
	.byte	0                               ; 0x0
	.size	__hip_cuid_84a21281ccd8b17a, 1

	.ident	"AMD clang version 19.0.0git (https://github.com/RadeonOpenCompute/llvm-project roc-6.4.0 25133 c7fe45cf4b819c5991fe208aaa96edf142730f1d)"
	.section	".note.GNU-stack","",@progbits
	.addrsig
	.addrsig_sym __hip_cuid_84a21281ccd8b17a
	.amdgpu_metadata
---
amdhsa.kernels:
  - .agpr_count:     0
    .args:
      - .offset:         0
        .size:           56
        .value_kind:     by_value
      - .offset:         56
        .size:           4
        .value_kind:     hidden_block_count_x
      - .offset:         60
        .size:           4
        .value_kind:     hidden_block_count_y
      - .offset:         64
        .size:           4
        .value_kind:     hidden_block_count_z
      - .offset:         68
        .size:           2
        .value_kind:     hidden_group_size_x
      - .offset:         70
        .size:           2
        .value_kind:     hidden_group_size_y
      - .offset:         72
        .size:           2
        .value_kind:     hidden_group_size_z
      - .offset:         74
        .size:           2
        .value_kind:     hidden_remainder_x
      - .offset:         76
        .size:           2
        .value_kind:     hidden_remainder_y
      - .offset:         78
        .size:           2
        .value_kind:     hidden_remainder_z
      - .offset:         96
        .size:           8
        .value_kind:     hidden_global_offset_x
      - .offset:         104
        .size:           8
        .value_kind:     hidden_global_offset_y
      - .offset:         112
        .size:           8
        .value_kind:     hidden_global_offset_z
      - .offset:         120
        .size:           2
        .value_kind:     hidden_grid_dims
    .group_segment_fixed_size: 0
    .kernarg_segment_align: 8
    .kernarg_segment_size: 312
    .language:       OpenCL C
    .language_version:
      - 2
      - 0
    .max_flat_workgroup_size: 1
    .name:           _Z30fast_hadamard_transform_kernelI37fast_hadamard_transform_kernel_traitsILi1ELi3EfEEv18HadamardParamsBase
    .private_segment_fixed_size: 0
    .sgpr_count:     30
    .sgpr_spill_count: 0
    .symbol:         _Z30fast_hadamard_transform_kernelI37fast_hadamard_transform_kernel_traitsILi1ELi3EfEEv18HadamardParamsBase.kd
    .uniform_work_group_size: 1
    .uses_dynamic_stack: false
    .vgpr_count:     20
    .vgpr_spill_count: 0
    .wavefront_size: 64
  - .agpr_count:     0
    .args:
      - .offset:         0
        .size:           56
        .value_kind:     by_value
      - .offset:         56
        .size:           4
        .value_kind:     hidden_block_count_x
      - .offset:         60
        .size:           4
        .value_kind:     hidden_block_count_y
      - .offset:         64
        .size:           4
        .value_kind:     hidden_block_count_z
      - .offset:         68
        .size:           2
        .value_kind:     hidden_group_size_x
      - .offset:         70
        .size:           2
        .value_kind:     hidden_group_size_y
      - .offset:         72
        .size:           2
        .value_kind:     hidden_group_size_z
      - .offset:         74
        .size:           2
        .value_kind:     hidden_remainder_x
      - .offset:         76
        .size:           2
        .value_kind:     hidden_remainder_y
      - .offset:         78
        .size:           2
        .value_kind:     hidden_remainder_z
      - .offset:         96
        .size:           8
        .value_kind:     hidden_global_offset_x
      - .offset:         104
        .size:           8
        .value_kind:     hidden_global_offset_y
      - .offset:         112
        .size:           8
        .value_kind:     hidden_global_offset_z
      - .offset:         120
        .size:           2
        .value_kind:     hidden_grid_dims
    .group_segment_fixed_size: 0
    .kernarg_segment_align: 8
    .kernarg_segment_size: 312
    .language:       OpenCL C
    .language_version:
      - 2
      - 0
    .max_flat_workgroup_size: 2
    .name:           _Z30fast_hadamard_transform_kernelI37fast_hadamard_transform_kernel_traitsILi2ELi4EfEEv18HadamardParamsBase
    .private_segment_fixed_size: 0
    .sgpr_count:     23
    .sgpr_spill_count: 0
    .symbol:         _Z30fast_hadamard_transform_kernelI37fast_hadamard_transform_kernel_traitsILi2ELi4EfEEv18HadamardParamsBase.kd
    .uniform_work_group_size: 1
    .uses_dynamic_stack: false
    .vgpr_count:     28
    .vgpr_spill_count: 0
    .wavefront_size: 64
  - .agpr_count:     0
    .args:
      - .offset:         0
        .size:           56
        .value_kind:     by_value
      - .offset:         56
        .size:           4
        .value_kind:     hidden_block_count_x
      - .offset:         60
        .size:           4
        .value_kind:     hidden_block_count_y
      - .offset:         64
        .size:           4
        .value_kind:     hidden_block_count_z
      - .offset:         68
        .size:           2
        .value_kind:     hidden_group_size_x
      - .offset:         70
        .size:           2
        .value_kind:     hidden_group_size_y
      - .offset:         72
        .size:           2
        .value_kind:     hidden_group_size_z
      - .offset:         74
        .size:           2
        .value_kind:     hidden_remainder_x
      - .offset:         76
        .size:           2
        .value_kind:     hidden_remainder_y
      - .offset:         78
        .size:           2
        .value_kind:     hidden_remainder_z
      - .offset:         96
        .size:           8
        .value_kind:     hidden_global_offset_x
      - .offset:         104
        .size:           8
        .value_kind:     hidden_global_offset_y
      - .offset:         112
        .size:           8
        .value_kind:     hidden_global_offset_z
      - .offset:         120
        .size:           2
        .value_kind:     hidden_grid_dims
    .group_segment_fixed_size: 0
    .kernarg_segment_align: 8
    .kernarg_segment_size: 312
    .language:       OpenCL C
    .language_version:
      - 2
      - 0
    .max_flat_workgroup_size: 4
    .name:           _Z30fast_hadamard_transform_kernelI37fast_hadamard_transform_kernel_traitsILi4ELi5EfEEv18HadamardParamsBase
    .private_segment_fixed_size: 0
    .sgpr_count:     23
    .sgpr_spill_count: 0
    .symbol:         _Z30fast_hadamard_transform_kernelI37fast_hadamard_transform_kernel_traitsILi4ELi5EfEEv18HadamardParamsBase.kd
    .uniform_work_group_size: 1
    .uses_dynamic_stack: false
    .vgpr_count:     28
    .vgpr_spill_count: 0
    .wavefront_size: 64
  - .agpr_count:     0
    .args:
      - .offset:         0
        .size:           56
        .value_kind:     by_value
      - .offset:         56
        .size:           4
        .value_kind:     hidden_block_count_x
      - .offset:         60
        .size:           4
        .value_kind:     hidden_block_count_y
      - .offset:         64
        .size:           4
        .value_kind:     hidden_block_count_z
      - .offset:         68
        .size:           2
        .value_kind:     hidden_group_size_x
      - .offset:         70
        .size:           2
        .value_kind:     hidden_group_size_y
      - .offset:         72
        .size:           2
        .value_kind:     hidden_group_size_z
      - .offset:         74
        .size:           2
        .value_kind:     hidden_remainder_x
      - .offset:         76
        .size:           2
        .value_kind:     hidden_remainder_y
      - .offset:         78
        .size:           2
        .value_kind:     hidden_remainder_z
      - .offset:         96
        .size:           8
        .value_kind:     hidden_global_offset_x
      - .offset:         104
        .size:           8
        .value_kind:     hidden_global_offset_y
      - .offset:         112
        .size:           8
        .value_kind:     hidden_global_offset_z
      - .offset:         120
        .size:           2
        .value_kind:     hidden_grid_dims
    .group_segment_fixed_size: 0
    .kernarg_segment_align: 8
    .kernarg_segment_size: 312
    .language:       OpenCL C
    .language_version:
      - 2
      - 0
    .max_flat_workgroup_size: 8
    .name:           _Z30fast_hadamard_transform_kernelI37fast_hadamard_transform_kernel_traitsILi8ELi6EfEEv18HadamardParamsBase
    .private_segment_fixed_size: 0
    .sgpr_count:     23
    .sgpr_spill_count: 0
    .symbol:         _Z30fast_hadamard_transform_kernelI37fast_hadamard_transform_kernel_traitsILi8ELi6EfEEv18HadamardParamsBase.kd
    .uniform_work_group_size: 1
    .uses_dynamic_stack: false
    .vgpr_count:     28
    .vgpr_spill_count: 0
    .wavefront_size: 64
  - .agpr_count:     0
    .args:
      - .offset:         0
        .size:           56
        .value_kind:     by_value
      - .offset:         56
        .size:           4
        .value_kind:     hidden_block_count_x
      - .offset:         60
        .size:           4
        .value_kind:     hidden_block_count_y
      - .offset:         64
        .size:           4
        .value_kind:     hidden_block_count_z
      - .offset:         68
        .size:           2
        .value_kind:     hidden_group_size_x
      - .offset:         70
        .size:           2
        .value_kind:     hidden_group_size_y
      - .offset:         72
        .size:           2
        .value_kind:     hidden_group_size_z
      - .offset:         74
        .size:           2
        .value_kind:     hidden_remainder_x
      - .offset:         76
        .size:           2
        .value_kind:     hidden_remainder_y
      - .offset:         78
        .size:           2
        .value_kind:     hidden_remainder_z
      - .offset:         96
        .size:           8
        .value_kind:     hidden_global_offset_x
      - .offset:         104
        .size:           8
        .value_kind:     hidden_global_offset_y
      - .offset:         112
        .size:           8
        .value_kind:     hidden_global_offset_z
      - .offset:         120
        .size:           2
        .value_kind:     hidden_grid_dims
    .group_segment_fixed_size: 0
    .kernarg_segment_align: 8
    .kernarg_segment_size: 312
    .language:       OpenCL C
    .language_version:
      - 2
      - 0
    .max_flat_workgroup_size: 16
    .name:           _Z30fast_hadamard_transform_kernelI37fast_hadamard_transform_kernel_traitsILi16ELi7EfEEv18HadamardParamsBase
    .private_segment_fixed_size: 0
    .sgpr_count:     26
    .sgpr_spill_count: 0
    .symbol:         _Z30fast_hadamard_transform_kernelI37fast_hadamard_transform_kernel_traitsILi16ELi7EfEEv18HadamardParamsBase.kd
    .uniform_work_group_size: 1
    .uses_dynamic_stack: false
    .vgpr_count:     30
    .vgpr_spill_count: 0
    .wavefront_size: 64
  - .agpr_count:     0
    .args:
      - .offset:         0
        .size:           56
        .value_kind:     by_value
      - .offset:         56
        .size:           4
        .value_kind:     hidden_block_count_x
      - .offset:         60
        .size:           4
        .value_kind:     hidden_block_count_y
      - .offset:         64
        .size:           4
        .value_kind:     hidden_block_count_z
      - .offset:         68
        .size:           2
        .value_kind:     hidden_group_size_x
      - .offset:         70
        .size:           2
        .value_kind:     hidden_group_size_y
      - .offset:         72
        .size:           2
        .value_kind:     hidden_group_size_z
      - .offset:         74
        .size:           2
        .value_kind:     hidden_remainder_x
      - .offset:         76
        .size:           2
        .value_kind:     hidden_remainder_y
      - .offset:         78
        .size:           2
        .value_kind:     hidden_remainder_z
      - .offset:         96
        .size:           8
        .value_kind:     hidden_global_offset_x
      - .offset:         104
        .size:           8
        .value_kind:     hidden_global_offset_y
      - .offset:         112
        .size:           8
        .value_kind:     hidden_global_offset_z
      - .offset:         120
        .size:           2
        .value_kind:     hidden_grid_dims
    .group_segment_fixed_size: 0
    .kernarg_segment_align: 8
    .kernarg_segment_size: 312
    .language:       OpenCL C
    .language_version:
      - 2
      - 0
    .max_flat_workgroup_size: 32
    .name:           _Z30fast_hadamard_transform_kernelI37fast_hadamard_transform_kernel_traitsILi32ELi8EfEEv18HadamardParamsBase
    .private_segment_fixed_size: 0
    .sgpr_count:     23
    .sgpr_spill_count: 0
    .symbol:         _Z30fast_hadamard_transform_kernelI37fast_hadamard_transform_kernel_traitsILi32ELi8EfEEv18HadamardParamsBase.kd
    .uniform_work_group_size: 1
    .uses_dynamic_stack: false
    .vgpr_count:     22
    .vgpr_spill_count: 0
    .wavefront_size: 64
  - .agpr_count:     0
    .args:
      - .offset:         0
        .size:           56
        .value_kind:     by_value
      - .offset:         56
        .size:           4
        .value_kind:     hidden_block_count_x
      - .offset:         60
        .size:           4
        .value_kind:     hidden_block_count_y
      - .offset:         64
        .size:           4
        .value_kind:     hidden_block_count_z
      - .offset:         68
        .size:           2
        .value_kind:     hidden_group_size_x
      - .offset:         70
        .size:           2
        .value_kind:     hidden_group_size_y
      - .offset:         72
        .size:           2
        .value_kind:     hidden_group_size_z
      - .offset:         74
        .size:           2
        .value_kind:     hidden_remainder_x
      - .offset:         76
        .size:           2
        .value_kind:     hidden_remainder_y
      - .offset:         78
        .size:           2
        .value_kind:     hidden_remainder_z
      - .offset:         96
        .size:           8
        .value_kind:     hidden_global_offset_x
      - .offset:         104
        .size:           8
        .value_kind:     hidden_global_offset_y
      - .offset:         112
        .size:           8
        .value_kind:     hidden_global_offset_z
      - .offset:         120
        .size:           2
        .value_kind:     hidden_grid_dims
    .group_segment_fixed_size: 0
    .kernarg_segment_align: 8
    .kernarg_segment_size: 312
    .language:       OpenCL C
    .language_version:
      - 2
      - 0
    .max_flat_workgroup_size: 32
    .name:           _Z30fast_hadamard_transform_kernelI37fast_hadamard_transform_kernel_traitsILi32ELi9EfEEv18HadamardParamsBase
    .private_segment_fixed_size: 0
    .sgpr_count:     22
    .sgpr_spill_count: 0
    .symbol:         _Z30fast_hadamard_transform_kernelI37fast_hadamard_transform_kernel_traitsILi32ELi9EfEEv18HadamardParamsBase.kd
    .uniform_work_group_size: 1
    .uses_dynamic_stack: false
    .vgpr_count:     40
    .vgpr_spill_count: 0
    .wavefront_size: 64
  - .agpr_count:     0
    .args:
      - .offset:         0
        .size:           56
        .value_kind:     by_value
      - .offset:         56
        .size:           4
        .value_kind:     hidden_block_count_x
      - .offset:         60
        .size:           4
        .value_kind:     hidden_block_count_y
      - .offset:         64
        .size:           4
        .value_kind:     hidden_block_count_z
      - .offset:         68
        .size:           2
        .value_kind:     hidden_group_size_x
      - .offset:         70
        .size:           2
        .value_kind:     hidden_group_size_y
      - .offset:         72
        .size:           2
        .value_kind:     hidden_group_size_z
      - .offset:         74
        .size:           2
        .value_kind:     hidden_remainder_x
      - .offset:         76
        .size:           2
        .value_kind:     hidden_remainder_y
      - .offset:         78
        .size:           2
        .value_kind:     hidden_remainder_z
      - .offset:         96
        .size:           8
        .value_kind:     hidden_global_offset_x
      - .offset:         104
        .size:           8
        .value_kind:     hidden_global_offset_y
      - .offset:         112
        .size:           8
        .value_kind:     hidden_global_offset_z
      - .offset:         120
        .size:           2
        .value_kind:     hidden_grid_dims
      - .offset:         176
        .size:           4
        .value_kind:     hidden_dynamic_lds_size
    .group_segment_fixed_size: 0
    .kernarg_segment_align: 8
    .kernarg_segment_size: 312
    .language:       OpenCL C
    .language_version:
      - 2
      - 0
    .max_flat_workgroup_size: 128
    .name:           _Z30fast_hadamard_transform_kernelI37fast_hadamard_transform_kernel_traitsILi128ELi10EfEEv18HadamardParamsBase
    .private_segment_fixed_size: 0
    .sgpr_count:     23
    .sgpr_spill_count: 0
    .symbol:         _Z30fast_hadamard_transform_kernelI37fast_hadamard_transform_kernel_traitsILi128ELi10EfEEv18HadamardParamsBase.kd
    .uniform_work_group_size: 1
    .uses_dynamic_stack: false
    .vgpr_count:     27
    .vgpr_spill_count: 0
    .wavefront_size: 64
  - .agpr_count:     0
    .args:
      - .offset:         0
        .size:           56
        .value_kind:     by_value
      - .offset:         56
        .size:           4
        .value_kind:     hidden_block_count_x
      - .offset:         60
        .size:           4
        .value_kind:     hidden_block_count_y
      - .offset:         64
        .size:           4
        .value_kind:     hidden_block_count_z
      - .offset:         68
        .size:           2
        .value_kind:     hidden_group_size_x
      - .offset:         70
        .size:           2
        .value_kind:     hidden_group_size_y
      - .offset:         72
        .size:           2
        .value_kind:     hidden_group_size_z
      - .offset:         74
        .size:           2
        .value_kind:     hidden_remainder_x
      - .offset:         76
        .size:           2
        .value_kind:     hidden_remainder_y
      - .offset:         78
        .size:           2
        .value_kind:     hidden_remainder_z
      - .offset:         96
        .size:           8
        .value_kind:     hidden_global_offset_x
      - .offset:         104
        .size:           8
        .value_kind:     hidden_global_offset_y
      - .offset:         112
        .size:           8
        .value_kind:     hidden_global_offset_z
      - .offset:         120
        .size:           2
        .value_kind:     hidden_grid_dims
      - .offset:         176
        .size:           4
        .value_kind:     hidden_dynamic_lds_size
    .group_segment_fixed_size: 0
    .kernarg_segment_align: 8
    .kernarg_segment_size: 312
    .language:       OpenCL C
    .language_version:
      - 2
      - 0
    .max_flat_workgroup_size: 256
    .name:           _Z30fast_hadamard_transform_kernelI37fast_hadamard_transform_kernel_traitsILi256ELi11EfEEv18HadamardParamsBase
    .private_segment_fixed_size: 0
    .sgpr_count:     26
    .sgpr_spill_count: 0
    .symbol:         _Z30fast_hadamard_transform_kernelI37fast_hadamard_transform_kernel_traitsILi256ELi11EfEEv18HadamardParamsBase.kd
    .uniform_work_group_size: 1
    .uses_dynamic_stack: false
    .vgpr_count:     27
    .vgpr_spill_count: 0
    .wavefront_size: 64
  - .agpr_count:     0
    .args:
      - .offset:         0
        .size:           56
        .value_kind:     by_value
      - .offset:         56
        .size:           4
        .value_kind:     hidden_block_count_x
      - .offset:         60
        .size:           4
        .value_kind:     hidden_block_count_y
      - .offset:         64
        .size:           4
        .value_kind:     hidden_block_count_z
      - .offset:         68
        .size:           2
        .value_kind:     hidden_group_size_x
      - .offset:         70
        .size:           2
        .value_kind:     hidden_group_size_y
      - .offset:         72
        .size:           2
        .value_kind:     hidden_group_size_z
      - .offset:         74
        .size:           2
        .value_kind:     hidden_remainder_x
      - .offset:         76
        .size:           2
        .value_kind:     hidden_remainder_y
      - .offset:         78
        .size:           2
        .value_kind:     hidden_remainder_z
      - .offset:         96
        .size:           8
        .value_kind:     hidden_global_offset_x
      - .offset:         104
        .size:           8
        .value_kind:     hidden_global_offset_y
      - .offset:         112
        .size:           8
        .value_kind:     hidden_global_offset_z
      - .offset:         120
        .size:           2
        .value_kind:     hidden_grid_dims
      - .offset:         176
        .size:           4
        .value_kind:     hidden_dynamic_lds_size
    .group_segment_fixed_size: 0
    .kernarg_segment_align: 8
    .kernarg_segment_size: 312
    .language:       OpenCL C
    .language_version:
      - 2
      - 0
    .max_flat_workgroup_size: 256
    .name:           _Z30fast_hadamard_transform_kernelI37fast_hadamard_transform_kernel_traitsILi256ELi12EfEEv18HadamardParamsBase
    .private_segment_fixed_size: 0
    .sgpr_count:     28
    .sgpr_spill_count: 0
    .symbol:         _Z30fast_hadamard_transform_kernelI37fast_hadamard_transform_kernel_traitsILi256ELi12EfEEv18HadamardParamsBase.kd
    .uniform_work_group_size: 1
    .uses_dynamic_stack: false
    .vgpr_count:     45
    .vgpr_spill_count: 0
    .wavefront_size: 64
  - .agpr_count:     0
    .args:
      - .offset:         0
        .size:           56
        .value_kind:     by_value
      - .offset:         56
        .size:           4
        .value_kind:     hidden_block_count_x
      - .offset:         60
        .size:           4
        .value_kind:     hidden_block_count_y
      - .offset:         64
        .size:           4
        .value_kind:     hidden_block_count_z
      - .offset:         68
        .size:           2
        .value_kind:     hidden_group_size_x
      - .offset:         70
        .size:           2
        .value_kind:     hidden_group_size_y
      - .offset:         72
        .size:           2
        .value_kind:     hidden_group_size_z
      - .offset:         74
        .size:           2
        .value_kind:     hidden_remainder_x
      - .offset:         76
        .size:           2
        .value_kind:     hidden_remainder_y
      - .offset:         78
        .size:           2
        .value_kind:     hidden_remainder_z
      - .offset:         96
        .size:           8
        .value_kind:     hidden_global_offset_x
      - .offset:         104
        .size:           8
        .value_kind:     hidden_global_offset_y
      - .offset:         112
        .size:           8
        .value_kind:     hidden_global_offset_z
      - .offset:         120
        .size:           2
        .value_kind:     hidden_grid_dims
      - .offset:         176
        .size:           4
        .value_kind:     hidden_dynamic_lds_size
    .group_segment_fixed_size: 0
    .kernarg_segment_align: 8
    .kernarg_segment_size: 312
    .language:       OpenCL C
    .language_version:
      - 2
      - 0
    .max_flat_workgroup_size: 256
    .name:           _Z30fast_hadamard_transform_kernelI37fast_hadamard_transform_kernel_traitsILi256ELi13EfEEv18HadamardParamsBase
    .private_segment_fixed_size: 0
    .sgpr_count:     44
    .sgpr_spill_count: 0
    .symbol:         _Z30fast_hadamard_transform_kernelI37fast_hadamard_transform_kernel_traitsILi256ELi13EfEEv18HadamardParamsBase.kd
    .uniform_work_group_size: 1
    .uses_dynamic_stack: false
    .vgpr_count:     78
    .vgpr_spill_count: 0
    .wavefront_size: 64
  - .agpr_count:     0
    .args:
      - .offset:         0
        .size:           56
        .value_kind:     by_value
      - .offset:         56
        .size:           4
        .value_kind:     hidden_block_count_x
      - .offset:         60
        .size:           4
        .value_kind:     hidden_block_count_y
      - .offset:         64
        .size:           4
        .value_kind:     hidden_block_count_z
      - .offset:         68
        .size:           2
        .value_kind:     hidden_group_size_x
      - .offset:         70
        .size:           2
        .value_kind:     hidden_group_size_y
      - .offset:         72
        .size:           2
        .value_kind:     hidden_group_size_z
      - .offset:         74
        .size:           2
        .value_kind:     hidden_remainder_x
      - .offset:         76
        .size:           2
        .value_kind:     hidden_remainder_y
      - .offset:         78
        .size:           2
        .value_kind:     hidden_remainder_z
      - .offset:         96
        .size:           8
        .value_kind:     hidden_global_offset_x
      - .offset:         104
        .size:           8
        .value_kind:     hidden_global_offset_y
      - .offset:         112
        .size:           8
        .value_kind:     hidden_global_offset_z
      - .offset:         120
        .size:           2
        .value_kind:     hidden_grid_dims
      - .offset:         176
        .size:           4
        .value_kind:     hidden_dynamic_lds_size
    .group_segment_fixed_size: 0
    .kernarg_segment_align: 8
    .kernarg_segment_size: 312
    .language:       OpenCL C
    .language_version:
      - 2
      - 0
    .max_flat_workgroup_size: 256
    .name:           _Z30fast_hadamard_transform_kernelI37fast_hadamard_transform_kernel_traitsILi256ELi14EfEEv18HadamardParamsBase
    .private_segment_fixed_size: 0
    .sgpr_count:     56
    .sgpr_spill_count: 0
    .symbol:         _Z30fast_hadamard_transform_kernelI37fast_hadamard_transform_kernel_traitsILi256ELi14EfEEv18HadamardParamsBase.kd
    .uniform_work_group_size: 1
    .uses_dynamic_stack: false
    .vgpr_count:     158
    .vgpr_spill_count: 0
    .wavefront_size: 64
  - .agpr_count:     98
    .args:
      - .offset:         0
        .size:           56
        .value_kind:     by_value
      - .offset:         56
        .size:           4
        .value_kind:     hidden_block_count_x
      - .offset:         60
        .size:           4
        .value_kind:     hidden_block_count_y
      - .offset:         64
        .size:           4
        .value_kind:     hidden_block_count_z
      - .offset:         68
        .size:           2
        .value_kind:     hidden_group_size_x
      - .offset:         70
        .size:           2
        .value_kind:     hidden_group_size_y
      - .offset:         72
        .size:           2
        .value_kind:     hidden_group_size_z
      - .offset:         74
        .size:           2
        .value_kind:     hidden_remainder_x
      - .offset:         76
        .size:           2
        .value_kind:     hidden_remainder_y
      - .offset:         78
        .size:           2
        .value_kind:     hidden_remainder_z
      - .offset:         96
        .size:           8
        .value_kind:     hidden_global_offset_x
      - .offset:         104
        .size:           8
        .value_kind:     hidden_global_offset_y
      - .offset:         112
        .size:           8
        .value_kind:     hidden_global_offset_z
      - .offset:         120
        .size:           2
        .value_kind:     hidden_grid_dims
      - .offset:         176
        .size:           4
        .value_kind:     hidden_dynamic_lds_size
    .group_segment_fixed_size: 0
    .kernarg_segment_align: 8
    .kernarg_segment_size: 312
    .language:       OpenCL C
    .language_version:
      - 2
      - 0
    .max_flat_workgroup_size: 256
    .name:           _Z30fast_hadamard_transform_kernelI37fast_hadamard_transform_kernel_traitsILi256ELi15EfEEv18HadamardParamsBase
    .private_segment_fixed_size: 0
    .sgpr_count:     84
    .sgpr_spill_count: 0
    .symbol:         _Z30fast_hadamard_transform_kernelI37fast_hadamard_transform_kernel_traitsILi256ELi15EfEEv18HadamardParamsBase.kd
    .uniform_work_group_size: 1
    .uses_dynamic_stack: false
    .vgpr_count:     354
    .vgpr_spill_count: 0
    .wavefront_size: 64
  - .agpr_count:     0
    .args:
      - .offset:         0
        .size:           56
        .value_kind:     by_value
    .group_segment_fixed_size: 0
    .kernarg_segment_align: 8
    .kernarg_segment_size: 56
    .language:       OpenCL C
    .language_version:
      - 2
      - 0
    .max_flat_workgroup_size: 1
    .name:           _Z30fast_hadamard_transform_kernelI37fast_hadamard_transform_kernel_traitsILi1ELi3E6__halfEEv18HadamardParamsBase
    .private_segment_fixed_size: 0
    .sgpr_count:     20
    .sgpr_spill_count: 0
    .symbol:         _Z30fast_hadamard_transform_kernelI37fast_hadamard_transform_kernel_traitsILi1ELi3E6__halfEEv18HadamardParamsBase.kd
    .uniform_work_group_size: 1
    .uses_dynamic_stack: false
    .vgpr_count:     20
    .vgpr_spill_count: 0
    .wavefront_size: 64
  - .agpr_count:     0
    .args:
      - .offset:         0
        .size:           56
        .value_kind:     by_value
    .group_segment_fixed_size: 0
    .kernarg_segment_align: 8
    .kernarg_segment_size: 56
    .language:       OpenCL C
    .language_version:
      - 2
      - 0
    .max_flat_workgroup_size: 2
    .name:           _Z30fast_hadamard_transform_kernelI37fast_hadamard_transform_kernel_traitsILi2ELi4E6__halfEEv18HadamardParamsBase
    .private_segment_fixed_size: 0
    .sgpr_count:     16
    .sgpr_spill_count: 0
    .symbol:         _Z30fast_hadamard_transform_kernelI37fast_hadamard_transform_kernel_traitsILi2ELi4E6__halfEEv18HadamardParamsBase.kd
    .uniform_work_group_size: 1
    .uses_dynamic_stack: false
    .vgpr_count:     24
    .vgpr_spill_count: 0
    .wavefront_size: 64
  - .agpr_count:     0
    .args:
      - .offset:         0
        .size:           56
        .value_kind:     by_value
    .group_segment_fixed_size: 0
    .kernarg_segment_align: 8
    .kernarg_segment_size: 56
    .language:       OpenCL C
    .language_version:
      - 2
      - 0
    .max_flat_workgroup_size: 4
    .name:           _Z30fast_hadamard_transform_kernelI37fast_hadamard_transform_kernel_traitsILi4ELi5E6__halfEEv18HadamardParamsBase
    .private_segment_fixed_size: 0
    .sgpr_count:     16
    .sgpr_spill_count: 0
    .symbol:         _Z30fast_hadamard_transform_kernelI37fast_hadamard_transform_kernel_traitsILi4ELi5E6__halfEEv18HadamardParamsBase.kd
    .uniform_work_group_size: 1
    .uses_dynamic_stack: false
    .vgpr_count:     26
    .vgpr_spill_count: 0
    .wavefront_size: 64
  - .agpr_count:     0
    .args:
      - .offset:         0
        .size:           56
        .value_kind:     by_value
    .group_segment_fixed_size: 0
    .kernarg_segment_align: 8
    .kernarg_segment_size: 56
    .language:       OpenCL C
    .language_version:
      - 2
      - 0
    .max_flat_workgroup_size: 8
    .name:           _Z30fast_hadamard_transform_kernelI37fast_hadamard_transform_kernel_traitsILi8ELi6E6__halfEEv18HadamardParamsBase
    .private_segment_fixed_size: 0
    .sgpr_count:     16
    .sgpr_spill_count: 0
    .symbol:         _Z30fast_hadamard_transform_kernelI37fast_hadamard_transform_kernel_traitsILi8ELi6E6__halfEEv18HadamardParamsBase.kd
    .uniform_work_group_size: 1
    .uses_dynamic_stack: false
    .vgpr_count:     28
    .vgpr_spill_count: 0
    .wavefront_size: 64
  - .agpr_count:     0
    .args:
      - .offset:         0
        .size:           56
        .value_kind:     by_value
    .group_segment_fixed_size: 0
    .kernarg_segment_align: 8
    .kernarg_segment_size: 56
    .language:       OpenCL C
    .language_version:
      - 2
      - 0
    .max_flat_workgroup_size: 16
    .name:           _Z30fast_hadamard_transform_kernelI37fast_hadamard_transform_kernel_traitsILi16ELi7E6__halfEEv18HadamardParamsBase
    .private_segment_fixed_size: 0
    .sgpr_count:     16
    .sgpr_spill_count: 0
    .symbol:         _Z30fast_hadamard_transform_kernelI37fast_hadamard_transform_kernel_traitsILi16ELi7E6__halfEEv18HadamardParamsBase.kd
    .uniform_work_group_size: 1
    .uses_dynamic_stack: false
    .vgpr_count:     30
    .vgpr_spill_count: 0
    .wavefront_size: 64
  - .agpr_count:     0
    .args:
      - .offset:         0
        .size:           56
        .value_kind:     by_value
    .group_segment_fixed_size: 0
    .kernarg_segment_align: 8
    .kernarg_segment_size: 56
    .language:       OpenCL C
    .language_version:
      - 2
      - 0
    .max_flat_workgroup_size: 32
    .name:           _Z30fast_hadamard_transform_kernelI37fast_hadamard_transform_kernel_traitsILi32ELi8E6__halfEEv18HadamardParamsBase
    .private_segment_fixed_size: 0
    .sgpr_count:     18
    .sgpr_spill_count: 0
    .symbol:         _Z30fast_hadamard_transform_kernelI37fast_hadamard_transform_kernel_traitsILi32ELi8E6__halfEEv18HadamardParamsBase.kd
    .uniform_work_group_size: 1
    .uses_dynamic_stack: false
    .vgpr_count:     20
    .vgpr_spill_count: 0
    .wavefront_size: 64
  - .agpr_count:     0
    .args:
      - .offset:         0
        .size:           56
        .value_kind:     by_value
      - .offset:         56
        .size:           4
        .value_kind:     hidden_block_count_x
      - .offset:         60
        .size:           4
        .value_kind:     hidden_block_count_y
      - .offset:         64
        .size:           4
        .value_kind:     hidden_block_count_z
      - .offset:         68
        .size:           2
        .value_kind:     hidden_group_size_x
      - .offset:         70
        .size:           2
        .value_kind:     hidden_group_size_y
      - .offset:         72
        .size:           2
        .value_kind:     hidden_group_size_z
      - .offset:         74
        .size:           2
        .value_kind:     hidden_remainder_x
      - .offset:         76
        .size:           2
        .value_kind:     hidden_remainder_y
      - .offset:         78
        .size:           2
        .value_kind:     hidden_remainder_z
      - .offset:         96
        .size:           8
        .value_kind:     hidden_global_offset_x
      - .offset:         104
        .size:           8
        .value_kind:     hidden_global_offset_y
      - .offset:         112
        .size:           8
        .value_kind:     hidden_global_offset_z
      - .offset:         120
        .size:           2
        .value_kind:     hidden_grid_dims
    .group_segment_fixed_size: 0
    .kernarg_segment_align: 8
    .kernarg_segment_size: 312
    .language:       OpenCL C
    .language_version:
      - 2
      - 0
    .max_flat_workgroup_size: 32
    .name:           _Z30fast_hadamard_transform_kernelI37fast_hadamard_transform_kernel_traitsILi32ELi9E6__halfEEv18HadamardParamsBase
    .private_segment_fixed_size: 0
    .sgpr_count:     20
    .sgpr_spill_count: 0
    .symbol:         _Z30fast_hadamard_transform_kernelI37fast_hadamard_transform_kernel_traitsILi32ELi9E6__halfEEv18HadamardParamsBase.kd
    .uniform_work_group_size: 1
    .uses_dynamic_stack: false
    .vgpr_count:     38
    .vgpr_spill_count: 0
    .wavefront_size: 64
  - .agpr_count:     0
    .args:
      - .offset:         0
        .size:           56
        .value_kind:     by_value
    .group_segment_fixed_size: 0
    .kernarg_segment_align: 8
    .kernarg_segment_size: 56
    .language:       OpenCL C
    .language_version:
      - 2
      - 0
    .max_flat_workgroup_size: 128
    .name:           _Z30fast_hadamard_transform_kernelI37fast_hadamard_transform_kernel_traitsILi128ELi10E6__halfEEv18HadamardParamsBase
    .private_segment_fixed_size: 0
    .sgpr_count:     20
    .sgpr_spill_count: 0
    .symbol:         _Z30fast_hadamard_transform_kernelI37fast_hadamard_transform_kernel_traitsILi128ELi10E6__halfEEv18HadamardParamsBase.kd
    .uniform_work_group_size: 1
    .uses_dynamic_stack: false
    .vgpr_count:     27
    .vgpr_spill_count: 0
    .wavefront_size: 64
  - .agpr_count:     0
    .args:
      - .offset:         0
        .size:           56
        .value_kind:     by_value
    .group_segment_fixed_size: 0
    .kernarg_segment_align: 8
    .kernarg_segment_size: 56
    .language:       OpenCL C
    .language_version:
      - 2
      - 0
    .max_flat_workgroup_size: 256
    .name:           _Z30fast_hadamard_transform_kernelI37fast_hadamard_transform_kernel_traitsILi256ELi11E6__halfEEv18HadamardParamsBase
    .private_segment_fixed_size: 0
    .sgpr_count:     20
    .sgpr_spill_count: 0
    .symbol:         _Z30fast_hadamard_transform_kernelI37fast_hadamard_transform_kernel_traitsILi256ELi11E6__halfEEv18HadamardParamsBase.kd
    .uniform_work_group_size: 1
    .uses_dynamic_stack: false
    .vgpr_count:     28
    .vgpr_spill_count: 0
    .wavefront_size: 64
  - .agpr_count:     0
    .args:
      - .offset:         0
        .size:           56
        .value_kind:     by_value
      - .offset:         56
        .size:           4
        .value_kind:     hidden_block_count_x
      - .offset:         60
        .size:           4
        .value_kind:     hidden_block_count_y
      - .offset:         64
        .size:           4
        .value_kind:     hidden_block_count_z
      - .offset:         68
        .size:           2
        .value_kind:     hidden_group_size_x
      - .offset:         70
        .size:           2
        .value_kind:     hidden_group_size_y
      - .offset:         72
        .size:           2
        .value_kind:     hidden_group_size_z
      - .offset:         74
        .size:           2
        .value_kind:     hidden_remainder_x
      - .offset:         76
        .size:           2
        .value_kind:     hidden_remainder_y
      - .offset:         78
        .size:           2
        .value_kind:     hidden_remainder_z
      - .offset:         96
        .size:           8
        .value_kind:     hidden_global_offset_x
      - .offset:         104
        .size:           8
        .value_kind:     hidden_global_offset_y
      - .offset:         112
        .size:           8
        .value_kind:     hidden_global_offset_z
      - .offset:         120
        .size:           2
        .value_kind:     hidden_grid_dims
      - .offset:         176
        .size:           4
        .value_kind:     hidden_dynamic_lds_size
    .group_segment_fixed_size: 0
    .kernarg_segment_align: 8
    .kernarg_segment_size: 312
    .language:       OpenCL C
    .language_version:
      - 2
      - 0
    .max_flat_workgroup_size: 256
    .name:           _Z30fast_hadamard_transform_kernelI37fast_hadamard_transform_kernel_traitsILi256ELi12E6__halfEEv18HadamardParamsBase
    .private_segment_fixed_size: 0
    .sgpr_count:     24
    .sgpr_spill_count: 0
    .symbol:         _Z30fast_hadamard_transform_kernelI37fast_hadamard_transform_kernel_traitsILi256ELi12E6__halfEEv18HadamardParamsBase.kd
    .uniform_work_group_size: 1
    .uses_dynamic_stack: false
    .vgpr_count:     43
    .vgpr_spill_count: 0
    .wavefront_size: 64
  - .agpr_count:     0
    .args:
      - .offset:         0
        .size:           56
        .value_kind:     by_value
      - .offset:         56
        .size:           4
        .value_kind:     hidden_block_count_x
      - .offset:         60
        .size:           4
        .value_kind:     hidden_block_count_y
      - .offset:         64
        .size:           4
        .value_kind:     hidden_block_count_z
      - .offset:         68
        .size:           2
        .value_kind:     hidden_group_size_x
      - .offset:         70
        .size:           2
        .value_kind:     hidden_group_size_y
      - .offset:         72
        .size:           2
        .value_kind:     hidden_group_size_z
      - .offset:         74
        .size:           2
        .value_kind:     hidden_remainder_x
      - .offset:         76
        .size:           2
        .value_kind:     hidden_remainder_y
      - .offset:         78
        .size:           2
        .value_kind:     hidden_remainder_z
      - .offset:         96
        .size:           8
        .value_kind:     hidden_global_offset_x
      - .offset:         104
        .size:           8
        .value_kind:     hidden_global_offset_y
      - .offset:         112
        .size:           8
        .value_kind:     hidden_global_offset_z
      - .offset:         120
        .size:           2
        .value_kind:     hidden_grid_dims
      - .offset:         176
        .size:           4
        .value_kind:     hidden_dynamic_lds_size
    .group_segment_fixed_size: 0
    .kernarg_segment_align: 8
    .kernarg_segment_size: 312
    .language:       OpenCL C
    .language_version:
      - 2
      - 0
    .max_flat_workgroup_size: 256
    .name:           _Z30fast_hadamard_transform_kernelI37fast_hadamard_transform_kernel_traitsILi256ELi13E6__halfEEv18HadamardParamsBase
    .private_segment_fixed_size: 0
    .sgpr_count:     28
    .sgpr_spill_count: 0
    .symbol:         _Z30fast_hadamard_transform_kernelI37fast_hadamard_transform_kernel_traitsILi256ELi13E6__halfEEv18HadamardParamsBase.kd
    .uniform_work_group_size: 1
    .uses_dynamic_stack: false
    .vgpr_count:     72
    .vgpr_spill_count: 0
    .wavefront_size: 64
  - .agpr_count:     0
    .args:
      - .offset:         0
        .size:           56
        .value_kind:     by_value
      - .offset:         56
        .size:           4
        .value_kind:     hidden_block_count_x
      - .offset:         60
        .size:           4
        .value_kind:     hidden_block_count_y
      - .offset:         64
        .size:           4
        .value_kind:     hidden_block_count_z
      - .offset:         68
        .size:           2
        .value_kind:     hidden_group_size_x
      - .offset:         70
        .size:           2
        .value_kind:     hidden_group_size_y
      - .offset:         72
        .size:           2
        .value_kind:     hidden_group_size_z
      - .offset:         74
        .size:           2
        .value_kind:     hidden_remainder_x
      - .offset:         76
        .size:           2
        .value_kind:     hidden_remainder_y
      - .offset:         78
        .size:           2
        .value_kind:     hidden_remainder_z
      - .offset:         96
        .size:           8
        .value_kind:     hidden_global_offset_x
      - .offset:         104
        .size:           8
        .value_kind:     hidden_global_offset_y
      - .offset:         112
        .size:           8
        .value_kind:     hidden_global_offset_z
      - .offset:         120
        .size:           2
        .value_kind:     hidden_grid_dims
      - .offset:         176
        .size:           4
        .value_kind:     hidden_dynamic_lds_size
    .group_segment_fixed_size: 0
    .kernarg_segment_align: 8
    .kernarg_segment_size: 312
    .language:       OpenCL C
    .language_version:
      - 2
      - 0
    .max_flat_workgroup_size: 256
    .name:           _Z30fast_hadamard_transform_kernelI37fast_hadamard_transform_kernel_traitsILi256ELi14E6__halfEEv18HadamardParamsBase
    .private_segment_fixed_size: 0
    .sgpr_count:     48
    .sgpr_spill_count: 0
    .symbol:         _Z30fast_hadamard_transform_kernelI37fast_hadamard_transform_kernel_traitsILi256ELi14E6__halfEEv18HadamardParamsBase.kd
    .uniform_work_group_size: 1
    .uses_dynamic_stack: false
    .vgpr_count:     150
    .vgpr_spill_count: 0
    .wavefront_size: 64
  - .agpr_count:     78
    .args:
      - .offset:         0
        .size:           56
        .value_kind:     by_value
      - .offset:         56
        .size:           4
        .value_kind:     hidden_block_count_x
      - .offset:         60
        .size:           4
        .value_kind:     hidden_block_count_y
      - .offset:         64
        .size:           4
        .value_kind:     hidden_block_count_z
      - .offset:         68
        .size:           2
        .value_kind:     hidden_group_size_x
      - .offset:         70
        .size:           2
        .value_kind:     hidden_group_size_y
      - .offset:         72
        .size:           2
        .value_kind:     hidden_group_size_z
      - .offset:         74
        .size:           2
        .value_kind:     hidden_remainder_x
      - .offset:         76
        .size:           2
        .value_kind:     hidden_remainder_y
      - .offset:         78
        .size:           2
        .value_kind:     hidden_remainder_z
      - .offset:         96
        .size:           8
        .value_kind:     hidden_global_offset_x
      - .offset:         104
        .size:           8
        .value_kind:     hidden_global_offset_y
      - .offset:         112
        .size:           8
        .value_kind:     hidden_global_offset_z
      - .offset:         120
        .size:           2
        .value_kind:     hidden_grid_dims
      - .offset:         176
        .size:           4
        .value_kind:     hidden_dynamic_lds_size
    .group_segment_fixed_size: 0
    .kernarg_segment_align: 8
    .kernarg_segment_size: 312
    .language:       OpenCL C
    .language_version:
      - 2
      - 0
    .max_flat_workgroup_size: 256
    .name:           _Z30fast_hadamard_transform_kernelI37fast_hadamard_transform_kernel_traitsILi256ELi15E6__halfEEv18HadamardParamsBase
    .private_segment_fixed_size: 0
    .sgpr_count:     52
    .sgpr_spill_count: 0
    .symbol:         _Z30fast_hadamard_transform_kernelI37fast_hadamard_transform_kernel_traitsILi256ELi15E6__halfEEv18HadamardParamsBase.kd
    .uniform_work_group_size: 1
    .uses_dynamic_stack: false
    .vgpr_count:     334
    .vgpr_spill_count: 0
    .wavefront_size: 64
  - .agpr_count:     0
    .args:
      - .offset:         0
        .size:           56
        .value_kind:     by_value
    .group_segment_fixed_size: 0
    .kernarg_segment_align: 8
    .kernarg_segment_size: 56
    .language:       OpenCL C
    .language_version:
      - 2
      - 0
    .max_flat_workgroup_size: 1
    .name:           _Z30fast_hadamard_transform_kernelI37fast_hadamard_transform_kernel_traitsILi1ELi3E14__hip_bfloat16EEv18HadamardParamsBase
    .private_segment_fixed_size: 0
    .sgpr_count:     28
    .sgpr_spill_count: 0
    .symbol:         _Z30fast_hadamard_transform_kernelI37fast_hadamard_transform_kernel_traitsILi1ELi3E14__hip_bfloat16EEv18HadamardParamsBase.kd
    .uniform_work_group_size: 1
    .uses_dynamic_stack: false
    .vgpr_count:     18
    .vgpr_spill_count: 0
    .wavefront_size: 64
  - .agpr_count:     0
    .args:
      - .offset:         0
        .size:           56
        .value_kind:     by_value
    .group_segment_fixed_size: 0
    .kernarg_segment_align: 8
    .kernarg_segment_size: 56
    .language:       OpenCL C
    .language_version:
      - 2
      - 0
    .max_flat_workgroup_size: 2
    .name:           _Z30fast_hadamard_transform_kernelI37fast_hadamard_transform_kernel_traitsILi2ELi4E14__hip_bfloat16EEv18HadamardParamsBase
    .private_segment_fixed_size: 0
    .sgpr_count:     17
    .sgpr_spill_count: 0
    .symbol:         _Z30fast_hadamard_transform_kernelI37fast_hadamard_transform_kernel_traitsILi2ELi4E14__hip_bfloat16EEv18HadamardParamsBase.kd
    .uniform_work_group_size: 1
    .uses_dynamic_stack: false
    .vgpr_count:     24
    .vgpr_spill_count: 0
    .wavefront_size: 64
  - .agpr_count:     0
    .args:
      - .offset:         0
        .size:           56
        .value_kind:     by_value
    .group_segment_fixed_size: 0
    .kernarg_segment_align: 8
    .kernarg_segment_size: 56
    .language:       OpenCL C
    .language_version:
      - 2
      - 0
    .max_flat_workgroup_size: 4
    .name:           _Z30fast_hadamard_transform_kernelI37fast_hadamard_transform_kernel_traitsILi4ELi5E14__hip_bfloat16EEv18HadamardParamsBase
    .private_segment_fixed_size: 0
    .sgpr_count:     17
    .sgpr_spill_count: 0
    .symbol:         _Z30fast_hadamard_transform_kernelI37fast_hadamard_transform_kernel_traitsILi4ELi5E14__hip_bfloat16EEv18HadamardParamsBase.kd
    .uniform_work_group_size: 1
    .uses_dynamic_stack: false
    .vgpr_count:     22
    .vgpr_spill_count: 0
    .wavefront_size: 64
  - .agpr_count:     0
    .args:
      - .offset:         0
        .size:           56
        .value_kind:     by_value
    .group_segment_fixed_size: 0
    .kernarg_segment_align: 8
    .kernarg_segment_size: 56
    .language:       OpenCL C
    .language_version:
      - 2
      - 0
    .max_flat_workgroup_size: 8
    .name:           _Z30fast_hadamard_transform_kernelI37fast_hadamard_transform_kernel_traitsILi8ELi6E14__hip_bfloat16EEv18HadamardParamsBase
    .private_segment_fixed_size: 0
    .sgpr_count:     17
    .sgpr_spill_count: 0
    .symbol:         _Z30fast_hadamard_transform_kernelI37fast_hadamard_transform_kernel_traitsILi8ELi6E14__hip_bfloat16EEv18HadamardParamsBase.kd
    .uniform_work_group_size: 1
    .uses_dynamic_stack: false
    .vgpr_count:     20
    .vgpr_spill_count: 0
    .wavefront_size: 64
  - .agpr_count:     0
    .args:
      - .offset:         0
        .size:           56
        .value_kind:     by_value
    .group_segment_fixed_size: 0
    .kernarg_segment_align: 8
    .kernarg_segment_size: 56
    .language:       OpenCL C
    .language_version:
      - 2
      - 0
    .max_flat_workgroup_size: 16
    .name:           _Z30fast_hadamard_transform_kernelI37fast_hadamard_transform_kernel_traitsILi16ELi7E14__hip_bfloat16EEv18HadamardParamsBase
    .private_segment_fixed_size: 0
    .sgpr_count:     17
    .sgpr_spill_count: 0
    .symbol:         _Z30fast_hadamard_transform_kernelI37fast_hadamard_transform_kernel_traitsILi16ELi7E14__hip_bfloat16EEv18HadamardParamsBase.kd
    .uniform_work_group_size: 1
    .uses_dynamic_stack: false
    .vgpr_count:     20
    .vgpr_spill_count: 0
    .wavefront_size: 64
  - .agpr_count:     0
    .args:
      - .offset:         0
        .size:           56
        .value_kind:     by_value
    .group_segment_fixed_size: 0
    .kernarg_segment_align: 8
    .kernarg_segment_size: 56
    .language:       OpenCL C
    .language_version:
      - 2
      - 0
    .max_flat_workgroup_size: 32
    .name:           _Z30fast_hadamard_transform_kernelI37fast_hadamard_transform_kernel_traitsILi32ELi8E14__hip_bfloat16EEv18HadamardParamsBase
    .private_segment_fixed_size: 0
    .sgpr_count:     17
    .sgpr_spill_count: 0
    .symbol:         _Z30fast_hadamard_transform_kernelI37fast_hadamard_transform_kernel_traitsILi32ELi8E14__hip_bfloat16EEv18HadamardParamsBase.kd
    .uniform_work_group_size: 1
    .uses_dynamic_stack: false
    .vgpr_count:     20
    .vgpr_spill_count: 0
    .wavefront_size: 64
  - .agpr_count:     0
    .args:
      - .offset:         0
        .size:           56
        .value_kind:     by_value
      - .offset:         56
        .size:           4
        .value_kind:     hidden_block_count_x
      - .offset:         60
        .size:           4
        .value_kind:     hidden_block_count_y
      - .offset:         64
        .size:           4
        .value_kind:     hidden_block_count_z
      - .offset:         68
        .size:           2
        .value_kind:     hidden_group_size_x
      - .offset:         70
        .size:           2
        .value_kind:     hidden_group_size_y
      - .offset:         72
        .size:           2
        .value_kind:     hidden_group_size_z
      - .offset:         74
        .size:           2
        .value_kind:     hidden_remainder_x
      - .offset:         76
        .size:           2
        .value_kind:     hidden_remainder_y
      - .offset:         78
        .size:           2
        .value_kind:     hidden_remainder_z
      - .offset:         96
        .size:           8
        .value_kind:     hidden_global_offset_x
      - .offset:         104
        .size:           8
        .value_kind:     hidden_global_offset_y
      - .offset:         112
        .size:           8
        .value_kind:     hidden_global_offset_z
      - .offset:         120
        .size:           2
        .value_kind:     hidden_grid_dims
    .group_segment_fixed_size: 0
    .kernarg_segment_align: 8
    .kernarg_segment_size: 312
    .language:       OpenCL C
    .language_version:
      - 2
      - 0
    .max_flat_workgroup_size: 32
    .name:           _Z30fast_hadamard_transform_kernelI37fast_hadamard_transform_kernel_traitsILi32ELi9E14__hip_bfloat16EEv18HadamardParamsBase
    .private_segment_fixed_size: 0
    .sgpr_count:     21
    .sgpr_spill_count: 0
    .symbol:         _Z30fast_hadamard_transform_kernelI37fast_hadamard_transform_kernel_traitsILi32ELi9E14__hip_bfloat16EEv18HadamardParamsBase.kd
    .uniform_work_group_size: 1
    .uses_dynamic_stack: false
    .vgpr_count:     38
    .vgpr_spill_count: 0
    .wavefront_size: 64
  - .agpr_count:     0
    .args:
      - .offset:         0
        .size:           56
        .value_kind:     by_value
    .group_segment_fixed_size: 0
    .kernarg_segment_align: 8
    .kernarg_segment_size: 56
    .language:       OpenCL C
    .language_version:
      - 2
      - 0
    .max_flat_workgroup_size: 128
    .name:           _Z30fast_hadamard_transform_kernelI37fast_hadamard_transform_kernel_traitsILi128ELi10E14__hip_bfloat16EEv18HadamardParamsBase
    .private_segment_fixed_size: 0
    .sgpr_count:     17
    .sgpr_spill_count: 0
    .symbol:         _Z30fast_hadamard_transform_kernelI37fast_hadamard_transform_kernel_traitsILi128ELi10E14__hip_bfloat16EEv18HadamardParamsBase.kd
    .uniform_work_group_size: 1
    .uses_dynamic_stack: false
    .vgpr_count:     26
    .vgpr_spill_count: 0
    .wavefront_size: 64
  - .agpr_count:     0
    .args:
      - .offset:         0
        .size:           56
        .value_kind:     by_value
    .group_segment_fixed_size: 0
    .kernarg_segment_align: 8
    .kernarg_segment_size: 56
    .language:       OpenCL C
    .language_version:
      - 2
      - 0
    .max_flat_workgroup_size: 256
    .name:           _Z30fast_hadamard_transform_kernelI37fast_hadamard_transform_kernel_traitsILi256ELi11E14__hip_bfloat16EEv18HadamardParamsBase
    .private_segment_fixed_size: 0
    .sgpr_count:     17
    .sgpr_spill_count: 0
    .symbol:         _Z30fast_hadamard_transform_kernelI37fast_hadamard_transform_kernel_traitsILi256ELi11E14__hip_bfloat16EEv18HadamardParamsBase.kd
    .uniform_work_group_size: 1
    .uses_dynamic_stack: false
    .vgpr_count:     26
    .vgpr_spill_count: 0
    .wavefront_size: 64
  - .agpr_count:     0
    .args:
      - .offset:         0
        .size:           56
        .value_kind:     by_value
      - .offset:         56
        .size:           4
        .value_kind:     hidden_block_count_x
      - .offset:         60
        .size:           4
        .value_kind:     hidden_block_count_y
      - .offset:         64
        .size:           4
        .value_kind:     hidden_block_count_z
      - .offset:         68
        .size:           2
        .value_kind:     hidden_group_size_x
      - .offset:         70
        .size:           2
        .value_kind:     hidden_group_size_y
      - .offset:         72
        .size:           2
        .value_kind:     hidden_group_size_z
      - .offset:         74
        .size:           2
        .value_kind:     hidden_remainder_x
      - .offset:         76
        .size:           2
        .value_kind:     hidden_remainder_y
      - .offset:         78
        .size:           2
        .value_kind:     hidden_remainder_z
      - .offset:         96
        .size:           8
        .value_kind:     hidden_global_offset_x
      - .offset:         104
        .size:           8
        .value_kind:     hidden_global_offset_y
      - .offset:         112
        .size:           8
        .value_kind:     hidden_global_offset_z
      - .offset:         120
        .size:           2
        .value_kind:     hidden_grid_dims
      - .offset:         176
        .size:           4
        .value_kind:     hidden_dynamic_lds_size
    .group_segment_fixed_size: 0
    .kernarg_segment_align: 8
    .kernarg_segment_size: 312
    .language:       OpenCL C
    .language_version:
      - 2
      - 0
    .max_flat_workgroup_size: 256
    .name:           _Z30fast_hadamard_transform_kernelI37fast_hadamard_transform_kernel_traitsILi256ELi12E14__hip_bfloat16EEv18HadamardParamsBase
    .private_segment_fixed_size: 0
    .sgpr_count:     24
    .sgpr_spill_count: 0
    .symbol:         _Z30fast_hadamard_transform_kernelI37fast_hadamard_transform_kernel_traitsILi256ELi12E14__hip_bfloat16EEv18HadamardParamsBase.kd
    .uniform_work_group_size: 1
    .uses_dynamic_stack: false
    .vgpr_count:     43
    .vgpr_spill_count: 0
    .wavefront_size: 64
  - .agpr_count:     0
    .args:
      - .offset:         0
        .size:           56
        .value_kind:     by_value
      - .offset:         56
        .size:           4
        .value_kind:     hidden_block_count_x
      - .offset:         60
        .size:           4
        .value_kind:     hidden_block_count_y
      - .offset:         64
        .size:           4
        .value_kind:     hidden_block_count_z
      - .offset:         68
        .size:           2
        .value_kind:     hidden_group_size_x
      - .offset:         70
        .size:           2
        .value_kind:     hidden_group_size_y
      - .offset:         72
        .size:           2
        .value_kind:     hidden_group_size_z
      - .offset:         74
        .size:           2
        .value_kind:     hidden_remainder_x
      - .offset:         76
        .size:           2
        .value_kind:     hidden_remainder_y
      - .offset:         78
        .size:           2
        .value_kind:     hidden_remainder_z
      - .offset:         96
        .size:           8
        .value_kind:     hidden_global_offset_x
      - .offset:         104
        .size:           8
        .value_kind:     hidden_global_offset_y
      - .offset:         112
        .size:           8
        .value_kind:     hidden_global_offset_z
      - .offset:         120
        .size:           2
        .value_kind:     hidden_grid_dims
      - .offset:         176
        .size:           4
        .value_kind:     hidden_dynamic_lds_size
    .group_segment_fixed_size: 0
    .kernarg_segment_align: 8
    .kernarg_segment_size: 312
    .language:       OpenCL C
    .language_version:
      - 2
      - 0
    .max_flat_workgroup_size: 256
    .name:           _Z30fast_hadamard_transform_kernelI37fast_hadamard_transform_kernel_traitsILi256ELi13E14__hip_bfloat16EEv18HadamardParamsBase
    .private_segment_fixed_size: 0
    .sgpr_count:     28
    .sgpr_spill_count: 0
    .symbol:         _Z30fast_hadamard_transform_kernelI37fast_hadamard_transform_kernel_traitsILi256ELi13E14__hip_bfloat16EEv18HadamardParamsBase.kd
    .uniform_work_group_size: 1
    .uses_dynamic_stack: false
    .vgpr_count:     72
    .vgpr_spill_count: 0
    .wavefront_size: 64
  - .agpr_count:     0
    .args:
      - .offset:         0
        .size:           56
        .value_kind:     by_value
      - .offset:         56
        .size:           4
        .value_kind:     hidden_block_count_x
      - .offset:         60
        .size:           4
        .value_kind:     hidden_block_count_y
      - .offset:         64
        .size:           4
        .value_kind:     hidden_block_count_z
      - .offset:         68
        .size:           2
        .value_kind:     hidden_group_size_x
      - .offset:         70
        .size:           2
        .value_kind:     hidden_group_size_y
      - .offset:         72
        .size:           2
        .value_kind:     hidden_group_size_z
      - .offset:         74
        .size:           2
        .value_kind:     hidden_remainder_x
      - .offset:         76
        .size:           2
        .value_kind:     hidden_remainder_y
      - .offset:         78
        .size:           2
        .value_kind:     hidden_remainder_z
      - .offset:         96
        .size:           8
        .value_kind:     hidden_global_offset_x
      - .offset:         104
        .size:           8
        .value_kind:     hidden_global_offset_y
      - .offset:         112
        .size:           8
        .value_kind:     hidden_global_offset_z
      - .offset:         120
        .size:           2
        .value_kind:     hidden_grid_dims
      - .offset:         176
        .size:           4
        .value_kind:     hidden_dynamic_lds_size
    .group_segment_fixed_size: 0
    .kernarg_segment_align: 8
    .kernarg_segment_size: 312
    .language:       OpenCL C
    .language_version:
      - 2
      - 0
    .max_flat_workgroup_size: 256
    .name:           _Z30fast_hadamard_transform_kernelI37fast_hadamard_transform_kernel_traitsILi256ELi14E14__hip_bfloat16EEv18HadamardParamsBase
    .private_segment_fixed_size: 0
    .sgpr_count:     44
    .sgpr_spill_count: 0
    .symbol:         _Z30fast_hadamard_transform_kernelI37fast_hadamard_transform_kernel_traitsILi256ELi14E14__hip_bfloat16EEv18HadamardParamsBase.kd
    .uniform_work_group_size: 1
    .uses_dynamic_stack: false
    .vgpr_count:     149
    .vgpr_spill_count: 0
    .wavefront_size: 64
  - .agpr_count:     52
    .args:
      - .offset:         0
        .size:           56
        .value_kind:     by_value
      - .offset:         56
        .size:           4
        .value_kind:     hidden_block_count_x
      - .offset:         60
        .size:           4
        .value_kind:     hidden_block_count_y
      - .offset:         64
        .size:           4
        .value_kind:     hidden_block_count_z
      - .offset:         68
        .size:           2
        .value_kind:     hidden_group_size_x
      - .offset:         70
        .size:           2
        .value_kind:     hidden_group_size_y
      - .offset:         72
        .size:           2
        .value_kind:     hidden_group_size_z
      - .offset:         74
        .size:           2
        .value_kind:     hidden_remainder_x
      - .offset:         76
        .size:           2
        .value_kind:     hidden_remainder_y
      - .offset:         78
        .size:           2
        .value_kind:     hidden_remainder_z
      - .offset:         96
        .size:           8
        .value_kind:     hidden_global_offset_x
      - .offset:         104
        .size:           8
        .value_kind:     hidden_global_offset_y
      - .offset:         112
        .size:           8
        .value_kind:     hidden_global_offset_z
      - .offset:         120
        .size:           2
        .value_kind:     hidden_grid_dims
      - .offset:         176
        .size:           4
        .value_kind:     hidden_dynamic_lds_size
    .group_segment_fixed_size: 0
    .kernarg_segment_align: 8
    .kernarg_segment_size: 312
    .language:       OpenCL C
    .language_version:
      - 2
      - 0
    .max_flat_workgroup_size: 256
    .name:           _Z30fast_hadamard_transform_kernelI37fast_hadamard_transform_kernel_traitsILi256ELi15E14__hip_bfloat16EEv18HadamardParamsBase
    .private_segment_fixed_size: 0
    .sgpr_count:     53
    .sgpr_spill_count: 0
    .symbol:         _Z30fast_hadamard_transform_kernelI37fast_hadamard_transform_kernel_traitsILi256ELi15E14__hip_bfloat16EEv18HadamardParamsBase.kd
    .uniform_work_group_size: 1
    .uses_dynamic_stack: false
    .vgpr_count:     308
    .vgpr_spill_count: 0
    .wavefront_size: 64
amdhsa.target:   amdgcn-amd-amdhsa--gfx90a
amdhsa.version:
  - 1
  - 2
...

	.end_amdgpu_metadata
